;; amdgpu-corpus repo=ROCm/composable_kernel kind=compiled arch=gfx950 opt=O3
	.amdgcn_target "amdgcn-amd-amdhsa--gfx950"
	.amdhsa_code_object_version 6
	.section	.text._ZN2ckL12flush_icacheEv,"axG",@progbits,_ZN2ckL12flush_icacheEv,comdat
	.globl	_ZN2ckL12flush_icacheEv         ; -- Begin function _ZN2ckL12flush_icacheEv
	.p2align	8
	.type	_ZN2ckL12flush_icacheEv,@function
_ZN2ckL12flush_icacheEv:                ; @_ZN2ckL12flush_icacheEv
; %bb.0:
	;;#ASMSTART
	s_icache_inv 
	s_nop 0 
	s_nop 0 
	;; [unrolled: 1-line block ×16, first 2 shown]
	
	;;#ASMEND
	s_endpgm
	.section	.rodata,"a",@progbits
	.p2align	6, 0x0
	.amdhsa_kernel _ZN2ckL12flush_icacheEv
		.amdhsa_group_segment_fixed_size 0
		.amdhsa_private_segment_fixed_size 0
		.amdhsa_kernarg_size 0
		.amdhsa_user_sgpr_count 0
		.amdhsa_user_sgpr_dispatch_ptr 0
		.amdhsa_user_sgpr_queue_ptr 0
		.amdhsa_user_sgpr_kernarg_segment_ptr 0
		.amdhsa_user_sgpr_dispatch_id 0
		.amdhsa_user_sgpr_kernarg_preload_length 0
		.amdhsa_user_sgpr_kernarg_preload_offset 0
		.amdhsa_user_sgpr_private_segment_size 0
		.amdhsa_uses_dynamic_stack 0
		.amdhsa_enable_private_segment 0
		.amdhsa_system_sgpr_workgroup_id_x 1
		.amdhsa_system_sgpr_workgroup_id_y 0
		.amdhsa_system_sgpr_workgroup_id_z 0
		.amdhsa_system_sgpr_workgroup_info 0
		.amdhsa_system_vgpr_workitem_id 0
		.amdhsa_next_free_vgpr 1
		.amdhsa_next_free_sgpr 0
		.amdhsa_accum_offset 4
		.amdhsa_reserve_vcc 0
		.amdhsa_float_round_mode_32 0
		.amdhsa_float_round_mode_16_64 0
		.amdhsa_float_denorm_mode_32 3
		.amdhsa_float_denorm_mode_16_64 3
		.amdhsa_dx10_clamp 1
		.amdhsa_ieee_mode 1
		.amdhsa_fp16_overflow 0
		.amdhsa_tg_split 0
		.amdhsa_exception_fp_ieee_invalid_op 0
		.amdhsa_exception_fp_denorm_src 0
		.amdhsa_exception_fp_ieee_div_zero 0
		.amdhsa_exception_fp_ieee_overflow 0
		.amdhsa_exception_fp_ieee_underflow 0
		.amdhsa_exception_fp_ieee_inexact 0
		.amdhsa_exception_int_div_zero 0
	.end_amdhsa_kernel
	.section	.text._ZN2ckL12flush_icacheEv,"axG",@progbits,_ZN2ckL12flush_icacheEv,comdat
.Lfunc_end0:
	.size	_ZN2ckL12flush_icacheEv, .Lfunc_end0-_ZN2ckL12flush_icacheEv
                                        ; -- End function
	.set _ZN2ckL12flush_icacheEv.num_vgpr, 0
	.set _ZN2ckL12flush_icacheEv.num_agpr, 0
	.set _ZN2ckL12flush_icacheEv.numbered_sgpr, 0
	.set _ZN2ckL12flush_icacheEv.num_named_barrier, 0
	.set _ZN2ckL12flush_icacheEv.private_seg_size, 0
	.set _ZN2ckL12flush_icacheEv.uses_vcc, 0
	.set _ZN2ckL12flush_icacheEv.uses_flat_scratch, 0
	.set _ZN2ckL12flush_icacheEv.has_dyn_sized_stack, 0
	.set _ZN2ckL12flush_icacheEv.has_recursion, 0
	.set _ZN2ckL12flush_icacheEv.has_indirect_call, 0
	.section	.AMDGPU.csdata,"",@progbits
; Kernel info:
; codeLenInByte = 276
; TotalNumSgprs: 6
; NumVgprs: 0
; NumAgprs: 0
; TotalNumVgprs: 0
; ScratchSize: 0
; MemoryBound: 0
; FloatMode: 240
; IeeeMode: 1
; LDSByteSize: 0 bytes/workgroup (compile time only)
; SGPRBlocks: 0
; VGPRBlocks: 0
; NumSGPRsForWavesPerEU: 6
; NumVGPRsForWavesPerEU: 1
; AccumOffset: 4
; Occupancy: 8
; WaveLimiterHint : 0
; COMPUTE_PGM_RSRC2:SCRATCH_EN: 0
; COMPUTE_PGM_RSRC2:USER_SGPR: 0
; COMPUTE_PGM_RSRC2:TRAP_HANDLER: 0
; COMPUTE_PGM_RSRC2:TGID_X_EN: 1
; COMPUTE_PGM_RSRC2:TGID_Y_EN: 0
; COMPUTE_PGM_RSRC2:TGID_Z_EN: 0
; COMPUTE_PGM_RSRC2:TIDIG_COMP_CNT: 0
; COMPUTE_PGM_RSRC3_GFX90A:ACCUM_OFFSET: 0
; COMPUTE_PGM_RSRC3_GFX90A:TG_SPLIT: 0
	.section	.text._ZN2ck27kernel_gemm_xdl_cshuffle_v3INS_28GridwiseGemm_xdl_cshuffle_v3INS_13tensor_layout4gemm8RowMajorENS3_11ColumnMajorES4_DF16_NS_7pk_i4_tEfDF16_DF16_NS_16tensor_operation12element_wise11PassThroughES9_S9_LNS7_6device18GemmSpecializationE0ELi128ELi16ELi128ELi128ELi8ELi32ELi16ELi16ELi1ELi4ENS_8SequenceIJLi16ELi8ELi1EEEENSC_IJLi1ELi0ELi2EEEESE_Li2ELi8ELi8ELb0ELi0ENSC_IJLi4ELi32ELi1EEEESE_SE_Li2ELi32ELi32ELb0ELi0ELi1ELi1ENSC_IJLi1ELi16ELi1ELi8EEEELi4ELNS_26BlockGemmPipelineSchedulerE1ELNS_24BlockGemmPipelineVersionE1EDF16_DF16_Lb0ELb1ELb0ELi0ELb0EEELb1ELNS_25InMemoryDataOperationEnumE1ELi2ELNS_10TailNumberE2EEEvNT_8ArgumentE,"axG",@progbits,_ZN2ck27kernel_gemm_xdl_cshuffle_v3INS_28GridwiseGemm_xdl_cshuffle_v3INS_13tensor_layout4gemm8RowMajorENS3_11ColumnMajorES4_DF16_NS_7pk_i4_tEfDF16_DF16_NS_16tensor_operation12element_wise11PassThroughES9_S9_LNS7_6device18GemmSpecializationE0ELi128ELi16ELi128ELi128ELi8ELi32ELi16ELi16ELi1ELi4ENS_8SequenceIJLi16ELi8ELi1EEEENSC_IJLi1ELi0ELi2EEEESE_Li2ELi8ELi8ELb0ELi0ENSC_IJLi4ELi32ELi1EEEESE_SE_Li2ELi32ELi32ELb0ELi0ELi1ELi1ENSC_IJLi1ELi16ELi1ELi8EEEELi4ELNS_26BlockGemmPipelineSchedulerE1ELNS_24BlockGemmPipelineVersionE1EDF16_DF16_Lb0ELb1ELb0ELi0ELb0EEELb1ELNS_25InMemoryDataOperationEnumE1ELi2ELNS_10TailNumberE2EEEvNT_8ArgumentE,comdat
	.protected	_ZN2ck27kernel_gemm_xdl_cshuffle_v3INS_28GridwiseGemm_xdl_cshuffle_v3INS_13tensor_layout4gemm8RowMajorENS3_11ColumnMajorES4_DF16_NS_7pk_i4_tEfDF16_DF16_NS_16tensor_operation12element_wise11PassThroughES9_S9_LNS7_6device18GemmSpecializationE0ELi128ELi16ELi128ELi128ELi8ELi32ELi16ELi16ELi1ELi4ENS_8SequenceIJLi16ELi8ELi1EEEENSC_IJLi1ELi0ELi2EEEESE_Li2ELi8ELi8ELb0ELi0ENSC_IJLi4ELi32ELi1EEEESE_SE_Li2ELi32ELi32ELb0ELi0ELi1ELi1ENSC_IJLi1ELi16ELi1ELi8EEEELi4ELNS_26BlockGemmPipelineSchedulerE1ELNS_24BlockGemmPipelineVersionE1EDF16_DF16_Lb0ELb1ELb0ELi0ELb0EEELb1ELNS_25InMemoryDataOperationEnumE1ELi2ELNS_10TailNumberE2EEEvNT_8ArgumentE ; -- Begin function _ZN2ck27kernel_gemm_xdl_cshuffle_v3INS_28GridwiseGemm_xdl_cshuffle_v3INS_13tensor_layout4gemm8RowMajorENS3_11ColumnMajorES4_DF16_NS_7pk_i4_tEfDF16_DF16_NS_16tensor_operation12element_wise11PassThroughES9_S9_LNS7_6device18GemmSpecializationE0ELi128ELi16ELi128ELi128ELi8ELi32ELi16ELi16ELi1ELi4ENS_8SequenceIJLi16ELi8ELi1EEEENSC_IJLi1ELi0ELi2EEEESE_Li2ELi8ELi8ELb0ELi0ENSC_IJLi4ELi32ELi1EEEESE_SE_Li2ELi32ELi32ELb0ELi0ELi1ELi1ENSC_IJLi1ELi16ELi1ELi8EEEELi4ELNS_26BlockGemmPipelineSchedulerE1ELNS_24BlockGemmPipelineVersionE1EDF16_DF16_Lb0ELb1ELb0ELi0ELb0EEELb1ELNS_25InMemoryDataOperationEnumE1ELi2ELNS_10TailNumberE2EEEvNT_8ArgumentE
	.globl	_ZN2ck27kernel_gemm_xdl_cshuffle_v3INS_28GridwiseGemm_xdl_cshuffle_v3INS_13tensor_layout4gemm8RowMajorENS3_11ColumnMajorES4_DF16_NS_7pk_i4_tEfDF16_DF16_NS_16tensor_operation12element_wise11PassThroughES9_S9_LNS7_6device18GemmSpecializationE0ELi128ELi16ELi128ELi128ELi8ELi32ELi16ELi16ELi1ELi4ENS_8SequenceIJLi16ELi8ELi1EEEENSC_IJLi1ELi0ELi2EEEESE_Li2ELi8ELi8ELb0ELi0ENSC_IJLi4ELi32ELi1EEEESE_SE_Li2ELi32ELi32ELb0ELi0ELi1ELi1ENSC_IJLi1ELi16ELi1ELi8EEEELi4ELNS_26BlockGemmPipelineSchedulerE1ELNS_24BlockGemmPipelineVersionE1EDF16_DF16_Lb0ELb1ELb0ELi0ELb0EEELb1ELNS_25InMemoryDataOperationEnumE1ELi2ELNS_10TailNumberE2EEEvNT_8ArgumentE
	.p2align	8
	.type	_ZN2ck27kernel_gemm_xdl_cshuffle_v3INS_28GridwiseGemm_xdl_cshuffle_v3INS_13tensor_layout4gemm8RowMajorENS3_11ColumnMajorES4_DF16_NS_7pk_i4_tEfDF16_DF16_NS_16tensor_operation12element_wise11PassThroughES9_S9_LNS7_6device18GemmSpecializationE0ELi128ELi16ELi128ELi128ELi8ELi32ELi16ELi16ELi1ELi4ENS_8SequenceIJLi16ELi8ELi1EEEENSC_IJLi1ELi0ELi2EEEESE_Li2ELi8ELi8ELb0ELi0ENSC_IJLi4ELi32ELi1EEEESE_SE_Li2ELi32ELi32ELb0ELi0ELi1ELi1ENSC_IJLi1ELi16ELi1ELi8EEEELi4ELNS_26BlockGemmPipelineSchedulerE1ELNS_24BlockGemmPipelineVersionE1EDF16_DF16_Lb0ELb1ELb0ELi0ELb0EEELb1ELNS_25InMemoryDataOperationEnumE1ELi2ELNS_10TailNumberE2EEEvNT_8ArgumentE,@function
_ZN2ck27kernel_gemm_xdl_cshuffle_v3INS_28GridwiseGemm_xdl_cshuffle_v3INS_13tensor_layout4gemm8RowMajorENS3_11ColumnMajorES4_DF16_NS_7pk_i4_tEfDF16_DF16_NS_16tensor_operation12element_wise11PassThroughES9_S9_LNS7_6device18GemmSpecializationE0ELi128ELi16ELi128ELi128ELi8ELi32ELi16ELi16ELi1ELi4ENS_8SequenceIJLi16ELi8ELi1EEEENSC_IJLi1ELi0ELi2EEEESE_Li2ELi8ELi8ELb0ELi0ENSC_IJLi4ELi32ELi1EEEESE_SE_Li2ELi32ELi32ELb0ELi0ELi1ELi1ENSC_IJLi1ELi16ELi1ELi8EEEELi4ELNS_26BlockGemmPipelineSchedulerE1ELNS_24BlockGemmPipelineVersionE1EDF16_DF16_Lb0ELb1ELb0ELi0ELb0EEELb1ELNS_25InMemoryDataOperationEnumE1ELi2ELNS_10TailNumberE2EEEvNT_8ArgumentE: ; @_ZN2ck27kernel_gemm_xdl_cshuffle_v3INS_28GridwiseGemm_xdl_cshuffle_v3INS_13tensor_layout4gemm8RowMajorENS3_11ColumnMajorES4_DF16_NS_7pk_i4_tEfDF16_DF16_NS_16tensor_operation12element_wise11PassThroughES9_S9_LNS7_6device18GemmSpecializationE0ELi128ELi16ELi128ELi128ELi8ELi32ELi16ELi16ELi1ELi4ENS_8SequenceIJLi16ELi8ELi1EEEENSC_IJLi1ELi0ELi2EEEESE_Li2ELi8ELi8ELb0ELi0ENSC_IJLi4ELi32ELi1EEEESE_SE_Li2ELi32ELi32ELb0ELi0ELi1ELi1ENSC_IJLi1ELi16ELi1ELi8EEEELi4ELNS_26BlockGemmPipelineSchedulerE1ELNS_24BlockGemmPipelineVersionE1EDF16_DF16_Lb0ELb1ELb0ELi0ELb0EEELb1ELNS_25InMemoryDataOperationEnumE1ELi2ELNS_10TailNumberE2EEEvNT_8ArgumentE
; %bb.0:
	s_load_dwordx8 s[4:11], s[0:1], 0x10
	s_load_dwordx2 s[16:17], s[0:1], 0x60
	s_waitcnt lgkmcnt(0)
	s_load_dword s11, s[0:1], 0x68
	s_load_dword s22, s[0:1], 0x3c
	s_load_dwordx4 s[12:15], s[0:1], 0x50
	s_cmp_gt_i32 s10, 1
	s_cselect_b64 s[18:19], -1, 0
	s_waitcnt lgkmcnt(0)
	s_bitcmp1_b32 s11, 0
	s_cselect_b64 s[20:21], -1, 0
	s_and_b64 s[18:19], s[18:19], s[20:21]
	s_andn2_b64 vcc, exec, s[18:19]
	s_mov_b64 s[18:19], 0
	s_cbranch_vccnz .LBB1_2
; %bb.1:
	s_mul_i32 s11, s4, s3
	s_mul_i32 s18, s11, s5
	s_ashr_i32 s19, s18, 31
.LBB1_2:
	s_load_dword s23, s[0:1], 0x34
	s_add_i32 s11, s4, -1
	s_cmp_lt_u32 s11, 16
	s_mov_b32 s21, 0
	s_cbranch_scc1 .LBB1_6
; %bb.3:
	s_add_i32 s0, s5, -1
	s_cmpk_lt_u32 s0, 0x80
	s_mov_b32 s0, 0
	s_cbranch_scc1 .LBB1_10
; %bb.4:
	s_add_i32 s0, s4, 15
	s_ashr_i32 s1, s0, 31
	s_lshr_b32 s1, s1, 28
	s_add_i32 s0, s0, s1
	s_ashr_i32 s24, s0, 4
	s_add_i32 s0, s5, 0x7f
	s_ashr_i32 s1, s0, 31
	s_lshr_b32 s1, s1, 25
	s_add_i32 s0, s0, s1
	s_ashr_i32 s20, s0, 7
	s_mul_i32 s0, s20, s24
	s_add_i32 s1, s0, 7
	s_ashr_i32 s25, s1, 31
	s_lshr_b32 s25, s25, 29
	s_add_i32 s1, s1, s25
	s_ashr_i32 s25, s1, 3
	s_and_b32 s1, s1, -8
	s_sub_i32 s26, s0, s1
	s_ashr_i32 s0, s2, 31
	s_lshr_b32 s0, s0, 29
	s_add_i32 s28, s2, s0
	s_and_b32 s0, s28, -8
	s_add_i32 s26, s26, 8
	s_sub_i32 s27, s2, s0
	s_cmp_gt_i32 s27, s26
	s_cbranch_scc1 .LBB1_7
; %bb.5:
	s_mul_i32 s2, s25, s27
	s_ashr_i32 s0, s28, 3
	s_cbranch_execz .LBB1_8
	s_branch .LBB1_9
.LBB1_6:
	s_mov_b32 s20, 0
	s_branch .LBB1_11
.LBB1_7:
                                        ; implicit-def: $sgpr2
	s_ashr_i32 s0, s28, 3
.LBB1_8:
	s_add_i32 s1, s25, -1
	s_mul_i32 s1, s1, s27
	s_add_i32 s2, s26, s1
.LBB1_9:
	s_abs_i32 s1, s20
	v_cvt_f32_u32_e32 v1, s1
	s_sub_i32 s26, 0, s1
	s_add_i32 s0, s2, s0
	s_abs_i32 s25, s0
	v_rcp_iflag_f32_e32 v1, v1
	s_xor_b32 s2, s0, s20
	s_ashr_i32 s2, s2, 31
	v_mul_f32_e32 v1, 0x4f7ffffe, v1
	v_cvt_u32_f32_e32 v1, v1
	s_nop 0
	v_readfirstlane_b32 s27, v1
	s_mul_i32 s26, s26, s27
	s_mul_hi_u32 s26, s27, s26
	s_add_i32 s27, s27, s26
	s_mul_hi_u32 s26, s25, s27
	s_mul_i32 s27, s26, s1
	s_sub_i32 s25, s25, s27
	s_add_i32 s28, s26, 1
	s_sub_i32 s27, s25, s1
	s_cmp_ge_u32 s25, s1
	s_cselect_b32 s26, s28, s26
	s_cselect_b32 s25, s27, s25
	s_add_i32 s27, s26, 1
	s_cmp_ge_u32 s25, s1
	s_cselect_b32 s1, s27, s26
	s_xor_b32 s1, s1, s2
	s_lshr_b32 s25, s24, 30
	s_sub_i32 s1, s1, s2
	s_add_i32 s25, s24, s25
	s_mul_i32 s2, s1, s20
	s_sub_i32 s0, s0, s2
	s_and_b32 s2, s25, -4
	s_sub_i32 s24, s24, s2
	s_cmp_ge_i32 s1, s2
	s_cselect_b32 s2, s24, 4
	s_abs_i32 s25, s2
	v_cvt_f32_u32_e32 v1, s25
	s_ashr_i32 s24, s1, 31
	s_lshr_b32 s24, s24, 30
	s_add_i32 s24, s1, s24
	v_rcp_iflag_f32_e32 v1, v1
	s_and_b32 s24, s24, -4
	s_sub_i32 s24, s1, s24
	s_sub_i32 s27, 0, s25
	v_mul_f32_e32 v1, 0x4f7ffffe, v1
	v_cvt_u32_f32_e32 v1, v1
	s_mul_i32 s20, s24, s20
	s_add_i32 s20, s20, s0
	s_abs_i32 s26, s20
	v_readfirstlane_b32 s28, v1
	s_mul_i32 s27, s27, s28
	s_mul_hi_u32 s27, s28, s27
	s_add_i32 s28, s28, s27
	s_mul_hi_u32 s27, s26, s28
	s_mul_i32 s28, s27, s25
	s_xor_b32 s0, s20, s2
	s_sub_i32 s26, s26, s28
	s_ashr_i32 s0, s0, 31
	s_add_i32 s28, s27, 1
	s_sub_i32 s29, s26, s25
	s_cmp_ge_u32 s26, s25
	s_cselect_b32 s27, s28, s27
	s_cselect_b32 s26, s29, s26
	s_add_i32 s28, s27, 1
	s_cmp_ge_u32 s26, s25
	s_cselect_b32 s25, s28, s27
	s_xor_b32 s25, s25, s0
	s_sub_i32 s0, s25, s0
	s_mul_i32 s2, s0, s2
	s_sub_i32 s2, s20, s2
	s_add_i32 s2, s2, s1
	s_sub_i32 s2, s2, s24
.LBB1_10:
	s_mov_b32 s20, s2
	s_mov_b32 s2, s0
.LBB1_11:
	s_waitcnt lgkmcnt(0)
	s_mul_i32 s0, s23, s3
	s_mul_i32 s1, s0, s5
	s_lshr_b32 s24, s1, 1
	s_ashr_i32 s1, s0, 31
	s_lshl_b64 s[0:1], s[0:1], 1
	s_add_u32 s0, s12, s0
	s_addc_u32 s1, s13, s1
	s_add_u32 s12, s14, s24
	s_addc_u32 s13, s15, 0
	s_ashr_i32 s15, s8, 31
	s_lshr_b32 s15, s15, 25
	s_add_i32 s10, s10, -1
	s_add_i32 s8, s8, s15
	s_mul_i32 s24, s10, s23
	v_lshrrev_b32_e32 v1, 3, v0
	s_ashr_i32 s15, s8, 7
	s_lshl_b32 s8, s5, 7
	s_sub_i32 s6, s6, s24
	v_and_b32_e32 v50, 14, v1
	s_cmp_lt_u32 s3, s10
	v_lshl_or_b32 v2, s20, 4, v50
	s_mul_i32 s14, s11, s7
	s_cselect_b32 s3, s23, s6
	v_and_b32_e32 v72, 15, v0
	v_mul_lo_u32 v51, v2, s7
	s_lshl_b32 s6, s2, 7
	v_lshl_add_u32 v18, v72, 3, v51
	v_and_b32_e32 v19, 0x7c, v0
	v_and_b32_e32 v52, 3, v0
	s_add_i32 s3, s3, s14
	v_or_b32_e32 v2, s6, v19
	v_lshlrev_b32_e32 v3, 5, v52
	s_lshl_b32 s2, s3, 1
	s_and_b32 s1, s1, 0xffff
	s_mov_b32 s3, 0x20000
	v_lshlrev_b32_e32 v10, 1, v18
	v_lshl_or_b32 v20, v2, 7, v3
	v_add_lshl_u32 v11, v18, s7, 1
	buffer_load_dwordx4 v[2:5], v10, s[0:3], 0 offen
	buffer_load_dwordx4 v[6:9], v11, s[0:3], 0 offen
	s_mul_i32 s10, s5, s15
	v_ashrrev_i32_e32 v21, 1, v20
	s_lshl_b32 s14, s10, 6
	s_and_b32 s13, s13, 0xffff
	s_mov_b32 s15, s3
	buffer_load_dwordx4 v[10:13], v21, s[12:15], 0 offen
	buffer_load_dwordx4 v[14:17], v21, s[12:15], 0 offen offset:64
	buffer_load_dwordx4 v[42:45], v21, s[12:15], 0 offen offset:128
	v_or_b32_e32 v26, 0x180, v20
	v_ashrrev_i32_e32 v20, 1, v26
	buffer_load_dwordx4 v[46:49], v20, s[12:15], 0 offen
	v_lshlrev_b32_e32 v22, 1, v0
	v_lshrrev_b32_e32 v21, 2, v0
	v_and_b32_e32 v20, 0x60, v22
	v_and_b32_e32 v73, 16, v21
	;; [unrolled: 1-line block ×3, first 2 shown]
	v_bitop3_b32 v74, v1, v72, 14 bitop3:0x6c
	v_lshrrev_b32_e32 v54, 1, v19
	v_lshlrev_b32_e32 v55, 1, v52
	v_lshlrev_b32_e32 v21, 7, v50
	v_lshrrev_b32_e32 v57, 3, v20
	v_or_b32_e32 v23, v73, v72
	v_lshrrev_b32_e32 v59, 4, v20
	v_bitop3_b32 v20, v50, v72, 1 bitop3:0x36
	v_lshlrev_b32_e32 v19, 7, v19
	v_bitop3_b32 v56, v54, v55, 6 bitop3:0x6c
	v_lshl_or_b32 v21, v74, 3, v21
	v_lshrrev_b32_e32 v23, 1, v23
	v_or_b32_e32 v24, v59, v53
	v_sub_u32_e32 v25, v20, v74
	v_sub_u32_e32 v20, v74, v20
	v_lshl_or_b32 v19, v56, 5, v19
	v_bitop3_b32 v63, v23, v24, 7 bitop3:0x6c
	v_lshlrev_b32_e32 v24, 1, v21
	v_lshlrev_b32_e32 v27, 3, v25
	v_lshlrev_b32_e32 v20, 3, v20
	v_and_b32_e32 v22, 6, v54
	v_add3_u32 v62, v27, v21, v20
	v_lshl_add_u32 v20, v25, 4, v24
	s_add_i32 s25, s8, 0xfffffe80
	v_add_u32_e32 v27, s25, v26
	v_lshlrev_b32_e32 v23, 8, v23
	v_add_u32_e32 v18, 0x80, v18
	v_lshl_or_b32 v64, v63, 5, v23
	v_bitop3_b32 v61, v57, v0, 15 bitop3:0x78
	s_ashr_i32 s24, s22, 31
	v_or_b32_e32 v88, 1, v1
	s_lshr_b32 s26, s24, 28
	s_add_i32 s22, s22, s26
	s_ashr_i32 s22, s22, 4
	v_mov_b32_e32 v60, 2
	s_movk_i32 s10, 0x80
	v_or_b32_e32 v86, 8, v52
	s_add_i32 s22, s22, -2
	v_lshrrev_b32_e32 v87, 1, v64
	v_mov_b32_e32 v91, 0xf000f
	v_mov_b32_e32 v92, 0x64006400
	s_waitcnt vmcnt(5)
	ds_write_b128 v24, v[2:5]
	s_waitcnt vmcnt(4)
	ds_write_b128 v20, v[6:9] offset:256
	v_lshrrev_b32_e32 v2, 1, v19
	v_ashrrev_i32_e32 v6, 1, v27
	v_add_u32_e32 v7, 0x80, v27
	v_add_lshl_u32 v5, v18, s7, 1
	s_waitcnt vmcnt(3)
	ds_write_b128 v2, v[10:13] offset:4096
	v_bitop3_b32 v2, v55, v22, 1 bitop3:0x36
	v_sub_u32_e32 v3, v2, v56
	v_lshlrev_b32_e32 v76, 5, v3
	v_add_u32_e32 v3, v76, v19
	v_ashrrev_i32_e32 v4, 1, v3
	s_waitcnt vmcnt(2)
	ds_write_b128 v4, v[14:17] offset:4096
	v_lshlrev_b32_e32 v4, 1, v18
	v_ashrrev_i32_e32 v7, 1, v7
	buffer_load_dwordx4 v[18:21], v6, s[12:15], 0 offen
	buffer_load_dwordx4 v[22:25], v7, s[12:15], 0 offen
	v_add_u32_e32 v6, 0x100, v27
	v_ashrrev_i32_e32 v6, 1, v6
	v_add_u32_e32 v7, s8, v26
	v_ashrrev_i32_e32 v8, 1, v7
	buffer_load_dwordx4 v[26:29], v6, s[12:15], 0 offen
	buffer_load_dwordx4 v[30:33], v8, s[12:15], 0 offen
	;; [unrolled: 1-line block ×4, first 2 shown]
	v_lshrrev_b32_e32 v4, 1, v0
	v_or_b32_e32 v5, 1, v4
	v_sub_u32_e32 v6, v5, v54
	v_bitop3_b32 v8, v5, v55, 7 bitop3:0x6c
	v_sub_u32_e32 v2, v8, v2
	v_lshlrev_b32_e32 v6, 8, v6
	v_lshl_add_u32 v79, v2, 5, v6
	v_add_u32_e32 v2, v79, v3
	v_bitop3_b32 v4, v4, 7, 1 bitop3:0xc8
	v_ashrrev_i32_e32 v3, 1, v2
	s_waitcnt vmcnt(7)
	ds_write_b128 v3, v[42:45] offset:4096
	v_bitop3_b32 v3, v55, v4, 1 bitop3:0x36
	v_sub_u32_e32 v4, v3, v8
	v_lshlrev_b32_e32 v80, 5, v4
	v_add_u32_e32 v100, v2, v80
	v_ashrrev_i32_e32 v2, 1, v100
	s_waitcnt vmcnt(6)
	ds_write_b128 v2, v[46:49] offset:4096
	v_sub_u32_e32 v2, v54, v5
	v_sub_u32_e32 v3, v56, v3
	v_lshlrev_b32_e32 v2, 8, v2
	v_lshl_add_u32 v85, v3, 5, v2
	v_lshlrev_b32_e32 v2, 8, v72
	v_lshl_or_b32 v81, v61, 4, v2
	v_bitop3_b32 v2, v57, v72, 1 bitop3:0x36
	v_sub_u32_e32 v2, v2, v61
	v_lshl_add_u32 v83, v2, 4, v81
	v_bitop3_b32 v2, v57, v72, 2 bitop3:0x36
	v_sub_u32_e32 v2, v2, v61
	v_lshl_add_u32 v82, v2, 4, v81
	v_bitop3_b32 v2, v57, v72, 3 bitop3:0x36
	v_sub_u32_e32 v2, v2, v61
	v_lshl_add_u32 v84, v2, 4, v81
	v_bfe_u32 v2, v0, 1, 3
	v_bitop3_b32 v2, v59, v2, v53 bitop3:0x36
	v_sub_u32_e32 v2, v2, v63
	v_lshl_add_u32 v2, v2, 5, v64
	v_add_u32_e32 v3, 0x1000, v2
	v_lshrrev_b32_e32 v78, 1, v3
	v_add_u32_e32 v3, 0x2000, v2
	v_add_u32_e32 v2, 0x3000, v2
	v_lshrrev_b32_e32 v75, 1, v2
	v_sub_u32_e32 v2, v88, v50
	v_lshrrev_b32_e32 v77, 1, v3
	v_lshlrev_b32_e32 v89, 7, v2
	v_add_u32_e32 v90, -1, v2
	v_add_u32_e32 v2, s7, v51
	v_lshlrev_b32_e32 v3, 4, v72
	v_lshl_add_u32 v98, v2, 1, v3
	v_mov_b32_e32 v2, 0
	v_add_u32_e32 v58, s25, v7
	v_lshl_add_u32 v99, v51, 1, v3
	v_mov_b32_e32 v93, 0xf000f0
	v_mov_b32_e32 v94, 0xe408e408
	;; [unrolled: 1-line block ×20, first 2 shown]
.LBB1_12:                               ; =>This Inner Loop Header: Depth=1
	s_waitcnt lgkmcnt(0)
	s_barrier
	ds_read_b128 v[64:67], v87 offset:4096
	ds_read_b128 v[54:57], v81
	ds_read_b128 v[50:53], v83
	;; [unrolled: 1-line block ×4, first 2 shown]
	s_waitcnt lgkmcnt(4)
	;;#ASMSTART
	v_and_or_b32 v59, v64, v91, v92
	;;#ASMEND
	;;#ASMSTART
	v_and_or_b32 v61, v64, v93, v92
	;;#ASMEND
	s_nop 0
	;;#ASMSTART
	v_pk_add_f16 v68, v59, v94
	;;#ASMEND
	v_ashrrev_i32_e32 v59, 8, v64
	;;#ASMSTART
	v_pk_fma_f16 v69, v61, v95, v96
	;;#ASMEND
	;;#ASMSTART
	v_and_or_b32 v61, v59, v91, v92
	;;#ASMEND
	;;#ASMSTART
	v_and_or_b32 v59, v59, v93, v92
	;;#ASMEND
	s_nop 0
	;;#ASMSTART
	v_pk_add_f16 v70, v61, v94
	;;#ASMEND
	;;#ASMSTART
	v_pk_fma_f16 v71, v59, v95, v96
	;;#ASMEND
	;;#ASMSTART
	v_and_or_b32 v59, v65, v91, v92
	;;#ASMEND
	;;#ASMSTART
	v_and_or_b32 v61, v65, v93, v92
	;;#ASMEND
	s_nop 0
	;;#ASMSTART
	v_pk_add_f16 v102, v59, v94
	;;#ASMEND
	v_ashrrev_i32_e32 v59, 8, v65
	;;#ASMSTART
	v_pk_fma_f16 v103, v61, v95, v96
	;;#ASMEND
	;;#ASMSTART
	v_and_or_b32 v61, v59, v91, v92
	;;#ASMEND
	;;#ASMSTART
	v_and_or_b32 v59, v59, v93, v92
	;;#ASMEND
	s_nop 0
	;;#ASMSTART
	v_pk_add_f16 v104, v61, v94
	;;#ASMEND
	;;#ASMSTART
	v_pk_fma_f16 v105, v59, v95, v96
	;;#ASMEND
	;; [unrolled: 27-line block ×4, first 2 shown]
	ds_read_b128 v[110:113], v78 offset:4096
	s_waitcnt lgkmcnt(0)
	;;#ASMSTART
	v_and_or_b32 v59, v110, v91, v92
	;;#ASMEND
	;;#ASMSTART
	v_and_or_b32 v61, v110, v93, v92
	;;#ASMEND
	s_nop 0
	;;#ASMSTART
	v_pk_add_f16 v114, v59, v94
	;;#ASMEND
	v_ashrrev_i32_e32 v59, 8, v110
	;;#ASMSTART
	v_pk_fma_f16 v115, v61, v95, v96
	;;#ASMEND
	;;#ASMSTART
	v_and_or_b32 v61, v59, v91, v92
	;;#ASMEND
	;;#ASMSTART
	v_and_or_b32 v59, v59, v93, v92
	;;#ASMEND
	s_nop 0
	;;#ASMSTART
	v_pk_add_f16 v116, v61, v94
	;;#ASMEND
	;;#ASMSTART
	v_pk_fma_f16 v117, v59, v95, v96
	;;#ASMEND
	;;#ASMSTART
	v_and_or_b32 v59, v111, v91, v92
	;;#ASMEND
	;;#ASMSTART
	v_and_or_b32 v61, v111, v93, v92
	;;#ASMEND
	s_nop 0
	;;#ASMSTART
	v_pk_add_f16 v118, v59, v94
	;;#ASMEND
	v_ashrrev_i32_e32 v59, 8, v111
	;;#ASMSTART
	v_pk_fma_f16 v119, v61, v95, v96
	;;#ASMEND
	;;#ASMSTART
	v_and_or_b32 v61, v59, v91, v92
	;;#ASMEND
	;;#ASMSTART
	v_and_or_b32 v59, v59, v93, v92
	;;#ASMEND
	s_nop 0
	;;#ASMSTART
	v_pk_add_f16 v120, v61, v94
	;;#ASMEND
	;;#ASMSTART
	v_pk_fma_f16 v121, v59, v95, v96
	;;#ASMEND
	;; [unrolled: 27-line block ×4, first 2 shown]
	ds_read_b128 v[126:129], v77 offset:4096
	s_waitcnt lgkmcnt(0)
	;;#ASMSTART
	v_and_or_b32 v59, v126, v91, v92
	;;#ASMEND
	;;#ASMSTART
	v_and_or_b32 v61, v126, v93, v92
	;;#ASMEND
	s_nop 0
	;;#ASMSTART
	v_pk_add_f16 v130, v59, v94
	;;#ASMEND
	v_ashrrev_i32_e32 v59, 8, v126
	;;#ASMSTART
	v_pk_fma_f16 v131, v61, v95, v96
	;;#ASMEND
	;;#ASMSTART
	v_and_or_b32 v61, v59, v91, v92
	;;#ASMEND
	;;#ASMSTART
	v_and_or_b32 v59, v59, v93, v92
	;;#ASMEND
	s_nop 0
	;;#ASMSTART
	v_pk_add_f16 v132, v61, v94
	;;#ASMEND
	;;#ASMSTART
	v_pk_fma_f16 v133, v59, v95, v96
	;;#ASMEND
	;;#ASMSTART
	v_and_or_b32 v59, v127, v91, v92
	;;#ASMEND
	;;#ASMSTART
	v_and_or_b32 v61, v127, v93, v92
	;;#ASMEND
	s_nop 0
	;;#ASMSTART
	v_pk_add_f16 v134, v59, v94
	;;#ASMEND
	v_ashrrev_i32_e32 v59, 8, v127
	;;#ASMSTART
	v_pk_fma_f16 v135, v61, v95, v96
	;;#ASMEND
	;;#ASMSTART
	v_and_or_b32 v61, v59, v91, v92
	;;#ASMEND
	;;#ASMSTART
	v_and_or_b32 v59, v59, v93, v92
	;;#ASMEND
	s_nop 0
	;;#ASMSTART
	v_pk_add_f16 v136, v61, v94
	;;#ASMEND
	;;#ASMSTART
	v_pk_fma_f16 v137, v59, v95, v96
	;;#ASMEND
	;;#ASMSTART
	v_and_or_b32 v59, v128, v91, v92
	;;#ASMEND
	;;#ASMSTART
	v_and_or_b32 v61, v128, v93, v92
	;;#ASMEND
	s_nop 0
	;;#ASMSTART
	v_pk_add_f16 v138, v59, v94
	;;#ASMEND
	v_ashrrev_i32_e32 v59, 8, v128
	;;#ASMSTART
	v_pk_fma_f16 v139, v61, v95, v96
	;;#ASMEND
	;;#ASMSTART
	v_and_or_b32 v61, v59, v91, v92
	;;#ASMEND
	;;#ASMSTART
	v_and_or_b32 v59, v59, v93, v92
	;;#ASMEND
	s_nop 0
	;;#ASMSTART
	v_pk_add_f16 v140, v61, v94
	;;#ASMEND
	;;#ASMSTART
	v_pk_fma_f16 v141, v59, v95, v96
	;;#ASMEND
	;;#ASMSTART
	v_and_or_b32 v59, v129, v91, v92
	;;#ASMEND
	;;#ASMSTART
	v_and_or_b32 v61, v129, v93, v92
	;;#ASMEND
	s_nop 0
	;;#ASMSTART
	v_pk_add_f16 v126, v59, v94
	;;#ASMEND
	v_ashrrev_i32_e32 v59, 8, v129
	;;#ASMSTART
	v_pk_fma_f16 v127, v61, v95, v96
	;;#ASMEND
	;;#ASMSTART
	v_and_or_b32 v61, v59, v91, v92
	;;#ASMEND
	;;#ASMSTART
	v_and_or_b32 v59, v59, v93, v92
	;;#ASMEND
	s_nop 0
	;;#ASMSTART
	v_pk_add_f16 v128, v61, v94
	;;#ASMEND
	;;#ASMSTART
	v_pk_fma_f16 v129, v59, v95, v96
	;;#ASMEND
	ds_read_b128 v[142:145], v75 offset:4096
	s_waitcnt lgkmcnt(0)
	;;#ASMSTART
	v_and_or_b32 v61, v142, v91, v92
	;;#ASMEND
	;;#ASMSTART
	v_and_or_b32 v63, v142, v93, v92
	;;#ASMEND
	v_add_u32_e32 v59, v100, v85
	;;#ASMSTART
	v_pk_add_f16 v146, v61, v94
	;;#ASMEND
	v_ashrrev_i32_e32 v61, 8, v142
	;;#ASMSTART
	v_pk_fma_f16 v147, v63, v95, v96
	;;#ASMEND
	;;#ASMSTART
	v_and_or_b32 v63, v61, v91, v92
	;;#ASMEND
	;;#ASMSTART
	v_and_or_b32 v61, v61, v93, v92
	;;#ASMEND
	s_nop 0
	;;#ASMSTART
	v_pk_add_f16 v148, v63, v94
	;;#ASMEND
	;;#ASMSTART
	v_pk_fma_f16 v149, v61, v95, v96
	;;#ASMEND
	;;#ASMSTART
	v_and_or_b32 v61, v143, v91, v92
	;;#ASMEND
	;;#ASMSTART
	v_and_or_b32 v63, v143, v93, v92
	;;#ASMEND
	s_nop 0
	;;#ASMSTART
	v_pk_add_f16 v150, v61, v94
	;;#ASMEND
	v_ashrrev_i32_e32 v61, 8, v143
	;;#ASMSTART
	v_pk_fma_f16 v151, v63, v95, v96
	;;#ASMEND
	;;#ASMSTART
	v_and_or_b32 v63, v61, v91, v92
	;;#ASMEND
	;;#ASMSTART
	v_and_or_b32 v61, v61, v93, v92
	;;#ASMEND
	s_nop 0
	;;#ASMSTART
	v_pk_add_f16 v152, v63, v94
	;;#ASMEND
	;;#ASMSTART
	v_pk_fma_f16 v153, v61, v95, v96
	;;#ASMEND
	;;#ASMSTART
	v_and_or_b32 v61, v144, v91, v92
	;;#ASMEND
	;;#ASMSTART
	v_and_or_b32 v63, v144, v93, v92
	;;#ASMEND
	s_nop 0
	;; [unrolled: 27-line block ×3, first 2 shown]
	;;#ASMSTART
	v_pk_add_f16 v142, v61, v94
	;;#ASMEND
	v_ashrrev_i32_e32 v61, 8, v145
	;;#ASMSTART
	v_pk_fma_f16 v143, v63, v95, v96
	;;#ASMEND
	;;#ASMSTART
	v_and_or_b32 v63, v61, v91, v92
	;;#ASMEND
	;;#ASMSTART
	v_and_or_b32 v61, v61, v93, v92
	;;#ASMEND
	s_nop 0
	;;#ASMSTART
	v_pk_add_f16 v144, v63, v94
	;;#ASMEND
	;;#ASMSTART
	v_pk_fma_f16 v145, v61, v95, v96
	;;#ASMEND
	; sched_barrier mask(0x00000000)
	s_barrier
	; sched_barrier mask(0x00000000)
	v_mfma_f32_16x16x32_f16 v[14:17], v[54:57], v[68:71], v[14:17]
	v_mfma_f32_16x16x32_f16 v[14:17], v[50:53], v[102:105], v[14:17]
	;; [unrolled: 1-line block ×4, first 2 shown]
	; sched_barrier mask(0x00000000)
	s_setprio 1
	; sched_barrier mask(0x00000000)
	v_mfma_f32_16x16x32_f16 v[10:13], v[54:57], v[114:117], v[10:13]
	v_mfma_f32_16x16x32_f16 v[6:9], v[54:57], v[130:133], v[6:9]
	;; [unrolled: 1-line block ×8, first 2 shown]
	; sched_barrier mask(0x00000000)
	s_waitcnt lgkmcnt(0)
	s_barrier
	; sched_barrier mask(0x00000000)
	v_mfma_f32_16x16x32_f16 v[2:5], v[54:57], v[146:149], v[2:5]
	v_mfma_f32_16x16x32_f16 v[2:5], v[50:53], v[150:153], v[2:5]
	;; [unrolled: 1-line block ×4, first 2 shown]
	; sched_barrier mask(0x00000000)
	s_setprio 0
	; sched_barrier mask(0x00000000)
	v_lshlrev_b32_e32 v50, 1, v62
	v_ashrrev_i32_e32 v51, 31, v88
	v_add_u32_e32 v63, -1, v88
	v_lshrrev_b32_e32 v52, 31, v59
	v_add_u32_e32 v53, v59, v76
	v_add_u32_e32 v55, 0x80, v58
	buffer_load_dwordx4 v[46:49], v99, s[0:3], 0 offen offset:512
	buffer_load_dwordx4 v[42:45], v98, s[0:3], 0 offen offset:512
	v_lshrrev_b32_e32 v54, 31, v58
	v_add_u32_e32 v56, 0x100, v58
	v_add_u32_e32 v57, 0x180, v58
	v_add_u32_e64 v103, 3, s21
	s_waitcnt vmcnt(3)
	ds_write_b128 v50, v[38:41]
	v_lshrrev_b32_e32 v38, 28, v51
	v_ashrrev_i32_e32 v39, 31, v63
	v_add_u32_e32 v40, v59, v52
	v_lshrrev_b32_e32 v41, 31, v53
	v_add_u32_e32 v50, v53, v79
	v_lshrrev_b32_e32 v52, 31, v55
	;; [unrolled: 2-line block ×3, first 2 shown]
	v_lshrrev_b32_e32 v59, 31, v57
	v_sub_u32_e32 v60, v103, v60
	v_add_u32_e32 v38, v88, v38
	v_lshrrev_b32_e32 v39, 28, v39
	v_ashrrev_i32_e32 v64, 1, v40
	v_add_u32_e32 v40, v53, v41
	v_lshrrev_b32_e32 v41, 31, v50
	v_add_u32_e32 v100, v50, v80
	v_add_u32_e32 v52, v55, v52
	v_ashrrev_i32_e32 v51, 1, v51
	v_add_u32_e32 v53, v56, v54
	v_add_u32_e32 v54, v57, v59
	v_mad_u64_u32 v[70:71], s[24:25], v60, s8, v[58:59]
	v_and_b32_e32 v55, -16, v38
	v_add_u32_e32 v56, v63, v39
	v_add_u32_e32 v50, v50, v41
	v_lshrrev_b32_e32 v57, 31, v100
	v_ashrrev_i32_e32 v65, 1, v52
	v_ashrrev_i32_e32 v71, 1, v40
	buffer_load_dwordx4 v[38:41], v51, s[12:15], 0 offen
	v_ashrrev_i32_e32 v66, 1, v53
	v_ashrrev_i32_e32 v67, 1, v54
	v_sub_u32_e32 v68, v88, v55
	v_and_b32_e32 v69, -16, v56
	v_ashrrev_i32_e32 v157, 1, v50
	v_add_u32_e32 v104, v100, v57
	buffer_load_dwordx4 v[50:53], v65, s[12:15], 0 offen
	buffer_load_dwordx4 v[54:57], v66, s[12:15], 0 offen
	;; [unrolled: 1-line block ×3, first 2 shown]
	v_xor_b32_e32 v158, v68, v72
	v_sub_u32_e32 v63, v63, v69
	v_sub_u32_e32 v65, v158, v74
	v_xor_b32_e32 v74, v63, v72
	v_lshlrev_b32_e32 v63, 3, v65
	v_add3_u32 v62, v62, v89, v63
	v_lshlrev_b32_e32 v161, 1, v62
	v_ashrrev_i32_e32 v159, 1, v104
	v_sub_u32_e32 v65, v74, v158
	s_waitcnt vmcnt(6)
	ds_write_b128 v161, v[34:37]
	ds_write_b128 v64, v[18:21] offset:4096
	ds_write_b128 v71, v[22:25] offset:4096
	;; [unrolled: 1-line block ×4, first 2 shown]
	s_waitcnt lgkmcnt(0)
	s_barrier
	ds_read_b128 v[104:107], v87 offset:4096
	ds_read_b128 v[30:33], v81
	ds_read_b128 v[26:29], v83
	;; [unrolled: 1-line block ×4, first 2 shown]
	v_lshl_add_u32 v160, v65, 3, v97
	s_waitcnt lgkmcnt(4)
	;;#ASMSTART
	v_and_or_b32 v34, v104, v91, v92
	;;#ASMEND
	;;#ASMSTART
	v_and_or_b32 v35, v104, v93, v92
	;;#ASMEND
	v_add_u32_e32 v162, v160, v62
	v_ashrrev_i32_e32 v36, 8, v104
	;;#ASMSTART
	v_pk_add_f16 v34, v34, v94
	;;#ASMEND
	;;#ASMSTART
	v_pk_fma_f16 v35, v35, v95, v96
	;;#ASMEND
	;;#ASMSTART
	v_and_or_b32 v37, v36, v91, v92
	;;#ASMEND
	;;#ASMSTART
	v_and_or_b32 v62, v36, v93, v92
	;;#ASMEND
	v_ashrrev_i32_e32 v64, 8, v105
	;;#ASMSTART
	v_pk_add_f16 v36, v37, v94
	;;#ASMEND
	;;#ASMSTART
	v_pk_fma_f16 v37, v62, v95, v96
	;;#ASMEND
	;;#ASMSTART
	v_and_or_b32 v62, v105, v91, v92
	;;#ASMEND
	;;#ASMSTART
	v_and_or_b32 v63, v105, v93, v92
	;;#ASMEND
	v_ashrrev_i32_e32 v68, 8, v106
	;;#ASMSTART
	v_pk_add_f16 v62, v62, v94
	;;#ASMEND
	;;#ASMSTART
	v_pk_fma_f16 v63, v63, v95, v96
	;;#ASMEND
	;;#ASMSTART
	v_and_or_b32 v65, v64, v91, v92
	;;#ASMEND
	;;#ASMSTART
	v_and_or_b32 v66, v64, v93, v92
	;;#ASMEND
	v_ashrrev_i32_e32 v108, 8, v107
	;;#ASMSTART
	v_pk_add_f16 v64, v65, v94
	;;#ASMEND
	;;#ASMSTART
	v_pk_fma_f16 v65, v66, v95, v96
	;;#ASMEND
	;;#ASMSTART
	v_and_or_b32 v66, v106, v91, v92
	;;#ASMEND
	;;#ASMSTART
	v_and_or_b32 v67, v106, v93, v92
	;;#ASMEND
	v_add_u32_e32 v101, 0x200, v99
	;;#ASMSTART
	v_pk_add_f16 v66, v66, v94
	;;#ASMEND
	;;#ASMSTART
	v_pk_fma_f16 v67, v67, v95, v96
	;;#ASMEND
	;;#ASMSTART
	v_and_or_b32 v69, v68, v91, v92
	;;#ASMEND
	;;#ASMSTART
	v_and_or_b32 v104, v68, v93, v92
	;;#ASMEND
	v_add_u32_e32 v102, 0x200, v98
	;;#ASMSTART
	v_pk_add_f16 v68, v69, v94
	;;#ASMEND
	;;#ASMSTART
	v_pk_fma_f16 v69, v104, v95, v96
	;;#ASMEND
	;;#ASMSTART
	v_and_or_b32 v104, v107, v91, v92
	;;#ASMEND
	;;#ASMSTART
	v_and_or_b32 v105, v107, v93, v92
	;;#ASMEND
	;; [unrolled: 13-line block ×3, first 2 shown]
	s_nop 0
	;;#ASMSTART
	v_pk_add_f16 v106, v106, v94
	;;#ASMEND
	;;#ASMSTART
	v_pk_fma_f16 v107, v107, v95, v96
	;;#ASMEND
	ds_read_b128 v[108:111], v78 offset:4096
	s_waitcnt lgkmcnt(0)
	;;#ASMSTART
	v_and_or_b32 v112, v108, v91, v92
	;;#ASMEND
	;;#ASMSTART
	v_and_or_b32 v113, v108, v93, v92
	;;#ASMEND
	v_ashrrev_i32_e32 v108, 8, v108
	;;#ASMSTART
	v_pk_add_f16 v112, v112, v94
	;;#ASMEND
	;;#ASMSTART
	v_pk_fma_f16 v113, v113, v95, v96
	;;#ASMEND
	;;#ASMSTART
	v_and_or_b32 v114, v108, v91, v92
	;;#ASMEND
	;;#ASMSTART
	v_and_or_b32 v108, v108, v93, v92
	;;#ASMEND
	v_ashrrev_i32_e32 v118, 8, v109
	;;#ASMSTART
	v_pk_add_f16 v114, v114, v94
	;;#ASMEND
	;;#ASMSTART
	v_pk_fma_f16 v115, v108, v95, v96
	;;#ASMEND
	;; [unrolled: 13-line block ×4, first 2 shown]
	;;#ASMSTART
	v_and_or_b32 v108, v110, v91, v92
	;;#ASMEND
	;;#ASMSTART
	v_and_or_b32 v109, v110, v93, v92
	;;#ASMEND
	s_nop 0
	;;#ASMSTART
	v_pk_add_f16 v120, v108, v94
	;;#ASMEND
	;;#ASMSTART
	v_pk_fma_f16 v121, v109, v95, v96
	;;#ASMEND
	;;#ASMSTART
	v_and_or_b32 v108, v122, v91, v92
	;;#ASMEND
	;;#ASMSTART
	v_and_or_b32 v109, v122, v93, v92
	;;#ASMEND
	s_nop 0
	;;#ASMSTART
	v_pk_add_f16 v122, v108, v94
	;;#ASMEND
	;;#ASMSTART
	v_pk_fma_f16 v123, v109, v95, v96
	;;#ASMEND
	;; [unrolled: 13-line block ×4, first 2 shown]
	ds_read_b128 v[124:127], v77 offset:4096
	s_waitcnt lgkmcnt(0)
	;;#ASMSTART
	v_and_or_b32 v128, v124, v91, v92
	;;#ASMEND
	;;#ASMSTART
	v_and_or_b32 v129, v124, v93, v92
	;;#ASMEND
	v_ashrrev_i32_e32 v124, 8, v124
	;;#ASMSTART
	v_pk_add_f16 v128, v128, v94
	;;#ASMEND
	;;#ASMSTART
	v_pk_fma_f16 v129, v129, v95, v96
	;;#ASMEND
	;;#ASMSTART
	v_and_or_b32 v130, v124, v91, v92
	;;#ASMEND
	;;#ASMSTART
	v_and_or_b32 v124, v124, v93, v92
	;;#ASMEND
	v_ashrrev_i32_e32 v134, 8, v125
	;;#ASMSTART
	v_pk_add_f16 v130, v130, v94
	;;#ASMEND
	;;#ASMSTART
	v_pk_fma_f16 v131, v124, v95, v96
	;;#ASMEND
	;; [unrolled: 13-line block ×4, first 2 shown]
	;;#ASMSTART
	v_and_or_b32 v124, v126, v91, v92
	;;#ASMEND
	;;#ASMSTART
	v_and_or_b32 v125, v126, v93, v92
	;;#ASMEND
	s_nop 0
	;;#ASMSTART
	v_pk_add_f16 v136, v124, v94
	;;#ASMEND
	;;#ASMSTART
	v_pk_fma_f16 v137, v125, v95, v96
	;;#ASMEND
	;;#ASMSTART
	v_and_or_b32 v124, v138, v91, v92
	;;#ASMEND
	;;#ASMSTART
	v_and_or_b32 v125, v138, v93, v92
	;;#ASMEND
	s_nop 0
	;;#ASMSTART
	v_pk_add_f16 v138, v124, v94
	;;#ASMEND
	;;#ASMSTART
	v_pk_fma_f16 v139, v125, v95, v96
	;;#ASMEND
	;; [unrolled: 13-line block ×4, first 2 shown]
	ds_read_b128 v[140:143], v75 offset:4096
	s_waitcnt lgkmcnt(0)
	;;#ASMSTART
	v_and_or_b32 v144, v140, v91, v92
	;;#ASMEND
	;;#ASMSTART
	v_and_or_b32 v145, v140, v93, v92
	;;#ASMEND
	v_ashrrev_i32_e32 v140, 8, v140
	;;#ASMSTART
	v_pk_add_f16 v144, v144, v94
	;;#ASMEND
	;;#ASMSTART
	v_pk_fma_f16 v145, v145, v95, v96
	;;#ASMEND
	;;#ASMSTART
	v_and_or_b32 v146, v140, v91, v92
	;;#ASMEND
	;;#ASMSTART
	v_and_or_b32 v140, v140, v93, v92
	;;#ASMEND
	v_ashrrev_i32_e32 v150, 8, v141
	;;#ASMSTART
	v_pk_add_f16 v146, v146, v94
	;;#ASMEND
	;;#ASMSTART
	v_pk_fma_f16 v147, v140, v95, v96
	;;#ASMEND
	;;#ASMSTART
	v_and_or_b32 v140, v141, v91, v92
	;;#ASMEND
	;;#ASMSTART
	v_and_or_b32 v141, v141, v93, v92
	;;#ASMEND
	v_ashrrev_i32_e32 v154, 8, v142
	;;#ASMSTART
	v_pk_add_f16 v148, v140, v94
	;;#ASMEND
	;;#ASMSTART
	v_pk_fma_f16 v149, v141, v95, v96
	;;#ASMEND
	;;#ASMSTART
	v_and_or_b32 v140, v150, v91, v92
	;;#ASMEND
	;;#ASMSTART
	v_and_or_b32 v141, v150, v93, v92
	;;#ASMEND
	v_ashrrev_i32_e32 v163, 8, v143
	;;#ASMSTART
	v_pk_add_f16 v150, v140, v94
	;;#ASMEND
	;;#ASMSTART
	v_pk_fma_f16 v151, v141, v95, v96
	;;#ASMEND
	;;#ASMSTART
	v_and_or_b32 v140, v142, v91, v92
	;;#ASMEND
	;;#ASMSTART
	v_and_or_b32 v141, v142, v93, v92
	;;#ASMEND
	s_nop 0
	;;#ASMSTART
	v_pk_add_f16 v152, v140, v94
	;;#ASMEND
	;;#ASMSTART
	v_pk_fma_f16 v153, v141, v95, v96
	;;#ASMEND
	;;#ASMSTART
	v_and_or_b32 v140, v154, v91, v92
	;;#ASMEND
	;;#ASMSTART
	v_and_or_b32 v141, v154, v93, v92
	;;#ASMEND
	s_nop 0
	;;#ASMSTART
	v_pk_add_f16 v154, v140, v94
	;;#ASMEND
	;;#ASMSTART
	v_pk_fma_f16 v155, v141, v95, v96
	;;#ASMEND
	;; [unrolled: 13-line block ×4, first 2 shown]
	; sched_barrier mask(0x00000000)
	s_barrier
	; sched_barrier mask(0x00000000)
	v_mfma_f32_16x16x32_f16 v[14:17], v[30:33], v[34:37], v[14:17]
	v_mfma_f32_16x16x32_f16 v[14:17], v[26:29], v[62:65], v[14:17]
	;; [unrolled: 1-line block ×4, first 2 shown]
	; sched_barrier mask(0x00000000)
	s_setprio 1
	; sched_barrier mask(0x00000000)
	v_mfma_f32_16x16x32_f16 v[10:13], v[30:33], v[112:115], v[10:13]
	v_mfma_f32_16x16x32_f16 v[6:9], v[30:33], v[128:131], v[6:9]
	;; [unrolled: 1-line block ×8, first 2 shown]
	; sched_barrier mask(0x00000000)
	s_waitcnt lgkmcnt(0)
	s_barrier
	; sched_barrier mask(0x00000000)
	v_mfma_f32_16x16x32_f16 v[2:5], v[30:33], v[144:147], v[2:5]
	v_mfma_f32_16x16x32_f16 v[2:5], v[26:29], v[148:151], v[2:5]
	;; [unrolled: 1-line block ×4, first 2 shown]
	; sched_barrier mask(0x00000000)
	s_setprio 0
	; sched_barrier mask(0x00000000)
	v_lshl_add_u32 v18, v160, 1, v161
	v_sub_u32_e32 v19, v158, v74
	s_waitcnt vmcnt(5)
	ds_write_b128 v18, v[46:49]
	v_lshl_add_u32 v18, v19, 4, v18
	s_waitcnt vmcnt(4)
	ds_write_b128 v18, v[42:45] offset:256
	v_lshrrev_b32_e32 v18, 31, v156
	v_add_u32_e32 v18, v156, v18
	v_ashrrev_i32_e32 v18, 1, v18
	v_add_u32_e32 v22, 0x80, v70
	v_add_u32_e32 v26, 0x100, v70
	;; [unrolled: 1-line block ×3, first 2 shown]
	s_waitcnt vmcnt(3)
	ds_write_b128 v18, v[38:41] offset:4096
	s_waitcnt vmcnt(2)
	ds_write_b128 v71, v[50:53] offset:4096
	;; [unrolled: 2-line block ×4, first 2 shown]
	v_lshrrev_b32_e32 v18, 31, v70
	v_lshrrev_b32_e32 v23, 31, v22
	;; [unrolled: 1-line block ×4, first 2 shown]
	v_add_u32_e32 v18, v70, v18
	v_add_u32_e32 v22, v22, v23
	;; [unrolled: 1-line block ×4, first 2 shown]
	v_lshl_add_u32 v20, v19, 3, v162
	v_ashrrev_i32_e32 v18, 1, v18
	v_ashrrev_i32_e32 v22, 1, v22
	;; [unrolled: 1-line block ×4, first 2 shown]
	v_add3_u32 v62, v20, v160, s10
	buffer_load_dwordx4 v[38:41], v99, s[0:3], 0 offen offset:768
	buffer_load_dwordx4 v[34:37], v98, s[0:3], 0 offen offset:768
	v_add_u32_e64 v42, 4, s21
	buffer_load_dwordx4 v[18:21], v18, s[12:15], 0 offen
	v_add_u32_e32 v86, 8, v86
	buffer_load_dwordx4 v[22:25], v22, s[12:15], 0 offen
	v_sub_u32_e32 v42, v42, v103
	buffer_load_dwordx4 v[26:29], v26, s[12:15], 0 offen
	s_add_i32 s21, s21, 2
	buffer_load_dwordx4 v[30:33], v30, s[12:15], 0 offen
	v_lshrrev_b32_e32 v60, 2, v86
	v_mad_u64_u32 v[58:59], s[24:25], v42, s8, v[70:71]
	v_add_u32_e32 v88, v88, v90
	s_cmp_lt_i32 s21, s22
	v_mov_b32_e32 v99, v101
	v_mov_b32_e32 v98, v102
	s_cbranch_scc1 .LBB1_12
; %bb.13:
	s_waitcnt lgkmcnt(0)
	s_barrier
	s_waitcnt vmcnt(0)
	ds_read_b128 v[30:33], v81
	ds_read_b128 v[26:29], v83
	ds_read_b128 v[40:43], v87 offset:4096
	ds_read_b128 v[22:25], v82
	ds_read_b128 v[18:21], v84
	v_mov_b32_e32 v74, 0xf000f
	v_mov_b32_e32 v104, 0x64006400
	s_waitcnt lgkmcnt(2)
	;;#ASMSTART
	v_and_or_b32 v34, v40, v74, v104
	;;#ASMEND
	v_mov_b32_e32 v105, 0xf000f0
	;;#ASMSTART
	v_and_or_b32 v35, v40, v105, v104
	;;#ASMEND
	v_mov_b32_e32 v106, 0xe408e408
	;;#ASMSTART
	v_pk_add_f16 v34, v34, v106
	;;#ASMEND
	v_mov_b32_e32 v107, 0x2c002c00
	v_mov_b32_e32 v108, 0xd480d480
	;;#ASMSTART
	v_pk_fma_f16 v35, v35, v107, v108
	;;#ASMEND
	v_ashrrev_i32_e32 v36, 8, v40
	;;#ASMSTART
	v_and_or_b32 v37, v36, v74, v104
	;;#ASMEND
	;;#ASMSTART
	v_and_or_b32 v38, v36, v105, v104
	;;#ASMEND
	v_ashrrev_i32_e32 v40, 8, v41
	;;#ASMSTART
	v_pk_add_f16 v36, v37, v106
	;;#ASMEND
	;;#ASMSTART
	v_pk_fma_f16 v37, v38, v107, v108
	;;#ASMEND
	;;#ASMSTART
	v_and_or_b32 v38, v41, v74, v104
	;;#ASMEND
	;;#ASMSTART
	v_and_or_b32 v39, v41, v105, v104
	;;#ASMEND
	s_lshl_b64 s[0:1], s[18:19], 1
	;;#ASMSTART
	v_pk_add_f16 v38, v38, v106
	;;#ASMEND
	;;#ASMSTART
	v_pk_fma_f16 v39, v39, v107, v108
	;;#ASMEND
	;;#ASMSTART
	v_and_or_b32 v41, v40, v74, v104
	;;#ASMEND
	;;#ASMSTART
	v_and_or_b32 v44, v40, v105, v104
	;;#ASMEND
	s_add_u32 s12, s16, s0
	;;#ASMSTART
	v_pk_add_f16 v40, v41, v106
	;;#ASMEND
	;;#ASMSTART
	v_pk_fma_f16 v41, v44, v107, v108
	;;#ASMEND
	;;#ASMSTART
	v_and_or_b32 v44, v42, v74, v104
	;;#ASMEND
	;;#ASMSTART
	v_and_or_b32 v45, v42, v105, v104
	;;#ASMEND
	v_ashrrev_i32_e32 v42, 8, v42
	;;#ASMSTART
	v_pk_add_f16 v44, v44, v106
	;;#ASMEND
	;;#ASMSTART
	v_pk_fma_f16 v45, v45, v107, v108
	;;#ASMEND
	;;#ASMSTART
	v_and_or_b32 v46, v42, v74, v104
	;;#ASMEND
	;;#ASMSTART
	v_and_or_b32 v42, v42, v105, v104
	;;#ASMEND
	s_addc_u32 s13, s17, s1
	;;#ASMSTART
	v_pk_add_f16 v46, v46, v106
	;;#ASMEND
	;;#ASMSTART
	v_pk_fma_f16 v47, v42, v107, v108
	;;#ASMEND
	;;#ASMSTART
	v_and_or_b32 v42, v43, v74, v104
	;;#ASMEND
	;;#ASMSTART
	v_and_or_b32 v49, v43, v105, v104
	;;#ASMEND
	s_mul_i32 s0, s11, s9
	;;#ASMSTART
	v_pk_add_f16 v48, v42, v106
	;;#ASMEND
	v_ashrrev_i32_e32 v42, 8, v43
	;;#ASMSTART
	v_pk_fma_f16 v49, v49, v107, v108
	;;#ASMEND
	;;#ASMSTART
	v_and_or_b32 v43, v42, v74, v104
	;;#ASMEND
	;;#ASMSTART
	v_and_or_b32 v42, v42, v105, v104
	;;#ASMEND
	s_mul_hi_u32 s1, 0, s9
	;;#ASMSTART
	v_pk_add_f16 v50, v43, v106
	;;#ASMEND
	;;#ASMSTART
	v_pk_fma_f16 v51, v42, v107, v108
	;;#ASMEND
	ds_read_b128 v[52:55], v78 offset:4096
	s_waitcnt lgkmcnt(0)
	;;#ASMSTART
	v_and_or_b32 v42, v52, v74, v104
	;;#ASMEND
	;;#ASMSTART
	v_and_or_b32 v43, v52, v105, v104
	;;#ASMEND
	s_add_i32 s2, s1, s0
	;;#ASMSTART
	v_pk_add_f16 v56, v42, v106
	;;#ASMEND
	v_ashrrev_i32_e32 v42, 8, v52
	;;#ASMSTART
	v_pk_fma_f16 v57, v43, v107, v108
	;;#ASMEND
	;;#ASMSTART
	v_and_or_b32 v43, v42, v74, v104
	;;#ASMEND
	;;#ASMSTART
	v_and_or_b32 v42, v42, v105, v104
	;;#ASMEND
	s_nop 0
	;;#ASMSTART
	v_pk_add_f16 v58, v43, v106
	;;#ASMEND
	;;#ASMSTART
	v_pk_fma_f16 v59, v42, v107, v108
	;;#ASMEND
	;;#ASMSTART
	v_and_or_b32 v42, v53, v74, v104
	;;#ASMEND
	;;#ASMSTART
	v_and_or_b32 v43, v53, v105, v104
	;;#ASMEND
	s_nop 0
	;;#ASMSTART
	v_pk_add_f16 v60, v42, v106
	;;#ASMEND
	v_ashrrev_i32_e32 v42, 8, v53
	;;#ASMSTART
	v_pk_fma_f16 v61, v43, v107, v108
	;;#ASMEND
	;;#ASMSTART
	v_and_or_b32 v43, v42, v74, v104
	;;#ASMEND
	;;#ASMSTART
	v_and_or_b32 v42, v42, v105, v104
	;;#ASMEND
	s_nop 0
	;;#ASMSTART
	v_pk_add_f16 v62, v43, v106
	;;#ASMEND
	;;#ASMSTART
	v_pk_fma_f16 v63, v42, v107, v108
	;;#ASMEND
	;;#ASMSTART
	v_and_or_b32 v42, v54, v74, v104
	;;#ASMEND
	;;#ASMSTART
	v_and_or_b32 v43, v54, v105, v104
	;;#ASMEND
	s_nop 0
	;; [unrolled: 27-line block ×3, first 2 shown]
	;;#ASMSTART
	v_pk_add_f16 v52, v42, v106
	;;#ASMEND
	v_ashrrev_i32_e32 v42, 8, v55
	;;#ASMSTART
	v_pk_fma_f16 v53, v43, v107, v108
	;;#ASMEND
	;;#ASMSTART
	v_and_or_b32 v43, v42, v74, v104
	;;#ASMEND
	;;#ASMSTART
	v_and_or_b32 v42, v42, v105, v104
	;;#ASMEND
	s_nop 0
	;;#ASMSTART
	v_pk_add_f16 v54, v43, v106
	;;#ASMEND
	;;#ASMSTART
	v_pk_fma_f16 v55, v42, v107, v108
	;;#ASMEND
	ds_read_b128 v[68:71], v77 offset:4096
	s_waitcnt lgkmcnt(0)
	;;#ASMSTART
	v_and_or_b32 v42, v68, v74, v104
	;;#ASMEND
	;;#ASMSTART
	v_and_or_b32 v43, v68, v105, v104
	;;#ASMEND
	s_nop 0
	;;#ASMSTART
	v_pk_add_f16 v76, v42, v106
	;;#ASMEND
	v_ashrrev_i32_e32 v42, 8, v68
	;;#ASMSTART
	v_pk_fma_f16 v77, v43, v107, v108
	;;#ASMEND
	;;#ASMSTART
	v_and_or_b32 v43, v42, v74, v104
	;;#ASMEND
	;;#ASMSTART
	v_and_or_b32 v42, v42, v105, v104
	;;#ASMEND
	s_nop 0
	;;#ASMSTART
	v_pk_add_f16 v78, v43, v106
	;;#ASMEND
	;;#ASMSTART
	v_pk_fma_f16 v79, v42, v107, v108
	;;#ASMEND
	;;#ASMSTART
	v_and_or_b32 v42, v69, v74, v104
	;;#ASMEND
	;;#ASMSTART
	v_and_or_b32 v43, v69, v105, v104
	;;#ASMEND
	s_nop 0
	;;#ASMSTART
	v_pk_add_f16 v80, v42, v106
	;;#ASMEND
	v_ashrrev_i32_e32 v42, 8, v69
	;;#ASMSTART
	v_pk_fma_f16 v81, v43, v107, v108
	;;#ASMEND
	;;#ASMSTART
	v_and_or_b32 v43, v42, v74, v104
	;;#ASMEND
	;;#ASMSTART
	v_and_or_b32 v42, v42, v105, v104
	;;#ASMEND
	s_nop 0
	;;#ASMSTART
	v_pk_add_f16 v82, v43, v106
	;;#ASMEND
	;;#ASMSTART
	v_pk_fma_f16 v83, v42, v107, v108
	;;#ASMEND
	;; [unrolled: 27-line block ×4, first 2 shown]
	ds_read_b128 v[88:91], v75 offset:4096
	s_waitcnt lgkmcnt(0)
	;;#ASMSTART
	v_and_or_b32 v42, v88, v74, v104
	;;#ASMEND
	;;#ASMSTART
	v_and_or_b32 v43, v88, v105, v104
	;;#ASMEND
	s_nop 0
	;;#ASMSTART
	v_pk_add_f16 v92, v42, v106
	;;#ASMEND
	v_ashrrev_i32_e32 v42, 8, v88
	;;#ASMSTART
	v_pk_fma_f16 v93, v43, v107, v108
	;;#ASMEND
	;;#ASMSTART
	v_and_or_b32 v43, v42, v74, v104
	;;#ASMEND
	;;#ASMSTART
	v_and_or_b32 v42, v42, v105, v104
	;;#ASMEND
	s_nop 0
	;;#ASMSTART
	v_pk_add_f16 v94, v43, v106
	;;#ASMEND
	;;#ASMSTART
	v_pk_fma_f16 v95, v42, v107, v108
	;;#ASMEND
	;;#ASMSTART
	v_and_or_b32 v42, v89, v74, v104
	;;#ASMEND
	;;#ASMSTART
	v_and_or_b32 v43, v89, v105, v104
	;;#ASMEND
	s_nop 0
	;;#ASMSTART
	v_pk_add_f16 v96, v42, v106
	;;#ASMEND
	v_ashrrev_i32_e32 v42, 8, v89
	;;#ASMSTART
	v_pk_fma_f16 v97, v43, v107, v108
	;;#ASMEND
	;;#ASMSTART
	v_and_or_b32 v43, v42, v74, v104
	;;#ASMEND
	;;#ASMSTART
	v_and_or_b32 v42, v42, v105, v104
	;;#ASMEND
	s_nop 0
	;;#ASMSTART
	v_pk_add_f16 v98, v43, v106
	;;#ASMEND
	;;#ASMSTART
	v_pk_fma_f16 v99, v42, v107, v108
	;;#ASMEND
	;; [unrolled: 27-line block ×4, first 2 shown]
	; sched_barrier mask(0x00000000)
	s_barrier
	; sched_barrier mask(0x00000000)
	v_mfma_f32_16x16x32_f16 v[14:17], v[30:33], v[34:37], v[14:17]
	v_mfma_f32_16x16x32_f16 v[14:17], v[26:29], v[38:41], v[14:17]
	;; [unrolled: 1-line block ×4, first 2 shown]
	; sched_barrier mask(0x00000000)
	s_setprio 1
	; sched_barrier mask(0x00000000)
	v_mfma_f32_16x16x32_f16 v[10:13], v[30:33], v[56:59], v[10:13]
	v_mfma_f32_16x16x32_f16 v[6:9], v[30:33], v[76:79], v[6:9]
	;; [unrolled: 1-line block ×8, first 2 shown]
	; sched_barrier mask(0x00000000)
	s_waitcnt lgkmcnt(0)
	s_barrier
	; sched_barrier mask(0x00000000)
	v_mfma_f32_16x16x32_f16 v[2:5], v[30:33], v[92:95], v[2:5]
	v_mfma_f32_16x16x32_f16 v[2:5], v[26:29], v[96:99], v[2:5]
	;; [unrolled: 1-line block ×4, first 2 shown]
	; sched_barrier mask(0x00000000)
	s_setprio 0
	; sched_barrier mask(0x00000000)
	v_lshlrev_b32_e32 v18, 2, v0
	v_lshlrev_b32_e32 v0, 4, v0
	v_and_b32_e32 v0, 0x300, v0
	v_cvt_f16_f32_e32 v14, v14
	v_lshl_or_b32 v0, v73, 1, v0
	v_lshl_add_u32 v22, v72, 1, v0
	v_cvt_f16_f32_e32 v0, v15
	v_cvt_f16_f32_e32 v15, v16
	v_and_b32_e32 v18, 28, v18
	v_cvt_f16_f32_e32 v16, v17
	s_waitcnt lgkmcnt(0)
	s_barrier
	ds_write_b16 v22, v14
	ds_write_b16 v22, v0 offset:64
	ds_write_b16 v22, v15 offset:128
	;; [unrolled: 1-line block ×3, first 2 shown]
	v_lshlrev_b32_e32 v0, 1, v18
	v_lshl_or_b32 v14, v1, 6, v0
	v_or_b32_e32 v19, s6, v18
	v_lshl_or_b32 v20, s20, 4, v1
	s_waitcnt lgkmcnt(0)
	s_barrier
	ds_read_b64 v[0:1], v14
	v_cmp_gt_i32_e32 vcc, s5, v19
	v_cmp_gt_i32_e64 s[0:1], s4, v20
	s_add_i32 s2, s5, s2
	v_mul_lo_u32 v21, v20, s9
	s_lshl_b32 s14, s2, 1
	v_bfrev_b32_e32 v16, 1
	s_and_b64 s[2:3], s[0:1], vcc
	v_add_lshl_u32 v15, v21, v19, 1
	v_cndmask_b32_e64 v17, v16, 0, s[2:3]
	s_mov_b32 s15, 0x20000
	v_add_u32_e32 v17, v17, v15
	s_waitcnt lgkmcnt(0)
	buffer_atomic_pk_add_f16 v0, v17, s[12:15], 0 offen
	buffer_atomic_pk_add_f16 v1, v17, s[12:15], 4 offen
	v_cvt_f16_f32_e32 v0, v10
	v_cvt_f16_f32_e32 v1, v11
	v_cvt_f16_f32_e32 v10, v12
	v_cvt_f16_f32_e32 v11, v13
	v_or_b32_e32 v17, 32, v19
	s_waitcnt lgkmcnt(0)
	s_barrier
	ds_write_b16 v22, v0
	ds_write_b16 v22, v1 offset:64
	ds_write_b16 v22, v10 offset:128
	ds_write_b16 v22, v11 offset:192
	s_waitcnt lgkmcnt(0)
	s_barrier
	ds_read_b64 v[0:1], v14
	v_cmp_gt_i32_e32 vcc, s5, v17
	s_and_b64 s[2:3], s[0:1], vcc
	v_cndmask_b32_e64 v10, v16, 0, s[2:3]
	v_add_u32_e32 v10, v15, v10
	s_waitcnt lgkmcnt(0)
	buffer_atomic_pk_add_f16 v0, v10, s[12:15], 0 offen offset:64
	buffer_atomic_pk_add_f16 v1, v10, s[12:15], 4 offen offset:64
	v_cvt_f16_f32_e32 v0, v6
	v_cvt_f16_f32_e32 v1, v7
	v_cvt_f16_f32_e32 v6, v8
	v_cvt_f16_f32_e32 v7, v9
	v_or_b32_e32 v10, 64, v19
	s_waitcnt lgkmcnt(0)
	s_barrier
	ds_write_b16 v22, v0
	ds_write_b16 v22, v1 offset:64
	ds_write_b16 v22, v6 offset:128
	ds_write_b16 v22, v7 offset:192
	s_waitcnt lgkmcnt(0)
	s_barrier
	ds_read_b64 v[0:1], v14
	v_cmp_gt_i32_e32 vcc, s5, v10
	s_and_b64 s[2:3], s[0:1], vcc
	v_cndmask_b32_e64 v6, v16, 0, s[2:3]
	v_add_u32_e32 v6, v15, v6
	s_waitcnt lgkmcnt(0)
	buffer_atomic_pk_add_f16 v0, v6, s[12:15], 0 offen offset:128
	buffer_atomic_pk_add_f16 v1, v6, s[12:15], 4 offen offset:128
	;; [unrolled: 21-line block ×3, first 2 shown]
	s_endpgm
	.section	.rodata,"a",@progbits
	.p2align	6, 0x0
	.amdhsa_kernel _ZN2ck27kernel_gemm_xdl_cshuffle_v3INS_28GridwiseGemm_xdl_cshuffle_v3INS_13tensor_layout4gemm8RowMajorENS3_11ColumnMajorES4_DF16_NS_7pk_i4_tEfDF16_DF16_NS_16tensor_operation12element_wise11PassThroughES9_S9_LNS7_6device18GemmSpecializationE0ELi128ELi16ELi128ELi128ELi8ELi32ELi16ELi16ELi1ELi4ENS_8SequenceIJLi16ELi8ELi1EEEENSC_IJLi1ELi0ELi2EEEESE_Li2ELi8ELi8ELb0ELi0ENSC_IJLi4ELi32ELi1EEEESE_SE_Li2ELi32ELi32ELb0ELi0ELi1ELi1ENSC_IJLi1ELi16ELi1ELi8EEEELi4ELNS_26BlockGemmPipelineSchedulerE1ELNS_24BlockGemmPipelineVersionE1EDF16_DF16_Lb0ELb1ELb0ELi0ELb0EEELb1ELNS_25InMemoryDataOperationEnumE1ELi2ELNS_10TailNumberE2EEEvNT_8ArgumentE
		.amdhsa_group_segment_fixed_size 12288
		.amdhsa_private_segment_fixed_size 0
		.amdhsa_kernarg_size 112
		.amdhsa_user_sgpr_count 2
		.amdhsa_user_sgpr_dispatch_ptr 0
		.amdhsa_user_sgpr_queue_ptr 0
		.amdhsa_user_sgpr_kernarg_segment_ptr 1
		.amdhsa_user_sgpr_dispatch_id 0
		.amdhsa_user_sgpr_kernarg_preload_length 0
		.amdhsa_user_sgpr_kernarg_preload_offset 0
		.amdhsa_user_sgpr_private_segment_size 0
		.amdhsa_uses_dynamic_stack 0
		.amdhsa_enable_private_segment 0
		.amdhsa_system_sgpr_workgroup_id_x 1
		.amdhsa_system_sgpr_workgroup_id_y 0
		.amdhsa_system_sgpr_workgroup_id_z 1
		.amdhsa_system_sgpr_workgroup_info 0
		.amdhsa_system_vgpr_workitem_id 0
		.amdhsa_next_free_vgpr 164
		.amdhsa_next_free_sgpr 75
		.amdhsa_accum_offset 164
		.amdhsa_reserve_vcc 1
		.amdhsa_float_round_mode_32 0
		.amdhsa_float_round_mode_16_64 0
		.amdhsa_float_denorm_mode_32 3
		.amdhsa_float_denorm_mode_16_64 3
		.amdhsa_dx10_clamp 1
		.amdhsa_ieee_mode 1
		.amdhsa_fp16_overflow 0
		.amdhsa_tg_split 0
		.amdhsa_exception_fp_ieee_invalid_op 0
		.amdhsa_exception_fp_denorm_src 0
		.amdhsa_exception_fp_ieee_div_zero 0
		.amdhsa_exception_fp_ieee_overflow 0
		.amdhsa_exception_fp_ieee_underflow 0
		.amdhsa_exception_fp_ieee_inexact 0
		.amdhsa_exception_int_div_zero 0
	.end_amdhsa_kernel
	.section	.text._ZN2ck27kernel_gemm_xdl_cshuffle_v3INS_28GridwiseGemm_xdl_cshuffle_v3INS_13tensor_layout4gemm8RowMajorENS3_11ColumnMajorES4_DF16_NS_7pk_i4_tEfDF16_DF16_NS_16tensor_operation12element_wise11PassThroughES9_S9_LNS7_6device18GemmSpecializationE0ELi128ELi16ELi128ELi128ELi8ELi32ELi16ELi16ELi1ELi4ENS_8SequenceIJLi16ELi8ELi1EEEENSC_IJLi1ELi0ELi2EEEESE_Li2ELi8ELi8ELb0ELi0ENSC_IJLi4ELi32ELi1EEEESE_SE_Li2ELi32ELi32ELb0ELi0ELi1ELi1ENSC_IJLi1ELi16ELi1ELi8EEEELi4ELNS_26BlockGemmPipelineSchedulerE1ELNS_24BlockGemmPipelineVersionE1EDF16_DF16_Lb0ELb1ELb0ELi0ELb0EEELb1ELNS_25InMemoryDataOperationEnumE1ELi2ELNS_10TailNumberE2EEEvNT_8ArgumentE,"axG",@progbits,_ZN2ck27kernel_gemm_xdl_cshuffle_v3INS_28GridwiseGemm_xdl_cshuffle_v3INS_13tensor_layout4gemm8RowMajorENS3_11ColumnMajorES4_DF16_NS_7pk_i4_tEfDF16_DF16_NS_16tensor_operation12element_wise11PassThroughES9_S9_LNS7_6device18GemmSpecializationE0ELi128ELi16ELi128ELi128ELi8ELi32ELi16ELi16ELi1ELi4ENS_8SequenceIJLi16ELi8ELi1EEEENSC_IJLi1ELi0ELi2EEEESE_Li2ELi8ELi8ELb0ELi0ENSC_IJLi4ELi32ELi1EEEESE_SE_Li2ELi32ELi32ELb0ELi0ELi1ELi1ENSC_IJLi1ELi16ELi1ELi8EEEELi4ELNS_26BlockGemmPipelineSchedulerE1ELNS_24BlockGemmPipelineVersionE1EDF16_DF16_Lb0ELb1ELb0ELi0ELb0EEELb1ELNS_25InMemoryDataOperationEnumE1ELi2ELNS_10TailNumberE2EEEvNT_8ArgumentE,comdat
.Lfunc_end1:
	.size	_ZN2ck27kernel_gemm_xdl_cshuffle_v3INS_28GridwiseGemm_xdl_cshuffle_v3INS_13tensor_layout4gemm8RowMajorENS3_11ColumnMajorES4_DF16_NS_7pk_i4_tEfDF16_DF16_NS_16tensor_operation12element_wise11PassThroughES9_S9_LNS7_6device18GemmSpecializationE0ELi128ELi16ELi128ELi128ELi8ELi32ELi16ELi16ELi1ELi4ENS_8SequenceIJLi16ELi8ELi1EEEENSC_IJLi1ELi0ELi2EEEESE_Li2ELi8ELi8ELb0ELi0ENSC_IJLi4ELi32ELi1EEEESE_SE_Li2ELi32ELi32ELb0ELi0ELi1ELi1ENSC_IJLi1ELi16ELi1ELi8EEEELi4ELNS_26BlockGemmPipelineSchedulerE1ELNS_24BlockGemmPipelineVersionE1EDF16_DF16_Lb0ELb1ELb0ELi0ELb0EEELb1ELNS_25InMemoryDataOperationEnumE1ELi2ELNS_10TailNumberE2EEEvNT_8ArgumentE, .Lfunc_end1-_ZN2ck27kernel_gemm_xdl_cshuffle_v3INS_28GridwiseGemm_xdl_cshuffle_v3INS_13tensor_layout4gemm8RowMajorENS3_11ColumnMajorES4_DF16_NS_7pk_i4_tEfDF16_DF16_NS_16tensor_operation12element_wise11PassThroughES9_S9_LNS7_6device18GemmSpecializationE0ELi128ELi16ELi128ELi128ELi8ELi32ELi16ELi16ELi1ELi4ENS_8SequenceIJLi16ELi8ELi1EEEENSC_IJLi1ELi0ELi2EEEESE_Li2ELi8ELi8ELb0ELi0ENSC_IJLi4ELi32ELi1EEEESE_SE_Li2ELi32ELi32ELb0ELi0ELi1ELi1ENSC_IJLi1ELi16ELi1ELi8EEEELi4ELNS_26BlockGemmPipelineSchedulerE1ELNS_24BlockGemmPipelineVersionE1EDF16_DF16_Lb0ELb1ELb0ELi0ELb0EEELb1ELNS_25InMemoryDataOperationEnumE1ELi2ELNS_10TailNumberE2EEEvNT_8ArgumentE
                                        ; -- End function
	.set _ZN2ck27kernel_gemm_xdl_cshuffle_v3INS_28GridwiseGemm_xdl_cshuffle_v3INS_13tensor_layout4gemm8RowMajorENS3_11ColumnMajorES4_DF16_NS_7pk_i4_tEfDF16_DF16_NS_16tensor_operation12element_wise11PassThroughES9_S9_LNS7_6device18GemmSpecializationE0ELi128ELi16ELi128ELi128ELi8ELi32ELi16ELi16ELi1ELi4ENS_8SequenceIJLi16ELi8ELi1EEEENSC_IJLi1ELi0ELi2EEEESE_Li2ELi8ELi8ELb0ELi0ENSC_IJLi4ELi32ELi1EEEESE_SE_Li2ELi32ELi32ELb0ELi0ELi1ELi1ENSC_IJLi1ELi16ELi1ELi8EEEELi4ELNS_26BlockGemmPipelineSchedulerE1ELNS_24BlockGemmPipelineVersionE1EDF16_DF16_Lb0ELb1ELb0ELi0ELb0EEELb1ELNS_25InMemoryDataOperationEnumE1ELi2ELNS_10TailNumberE2EEEvNT_8ArgumentE.num_vgpr, 164
	.set _ZN2ck27kernel_gemm_xdl_cshuffle_v3INS_28GridwiseGemm_xdl_cshuffle_v3INS_13tensor_layout4gemm8RowMajorENS3_11ColumnMajorES4_DF16_NS_7pk_i4_tEfDF16_DF16_NS_16tensor_operation12element_wise11PassThroughES9_S9_LNS7_6device18GemmSpecializationE0ELi128ELi16ELi128ELi128ELi8ELi32ELi16ELi16ELi1ELi4ENS_8SequenceIJLi16ELi8ELi1EEEENSC_IJLi1ELi0ELi2EEEESE_Li2ELi8ELi8ELb0ELi0ENSC_IJLi4ELi32ELi1EEEESE_SE_Li2ELi32ELi32ELb0ELi0ELi1ELi1ENSC_IJLi1ELi16ELi1ELi8EEEELi4ELNS_26BlockGemmPipelineSchedulerE1ELNS_24BlockGemmPipelineVersionE1EDF16_DF16_Lb0ELb1ELb0ELi0ELb0EEELb1ELNS_25InMemoryDataOperationEnumE1ELi2ELNS_10TailNumberE2EEEvNT_8ArgumentE.num_agpr, 0
	.set _ZN2ck27kernel_gemm_xdl_cshuffle_v3INS_28GridwiseGemm_xdl_cshuffle_v3INS_13tensor_layout4gemm8RowMajorENS3_11ColumnMajorES4_DF16_NS_7pk_i4_tEfDF16_DF16_NS_16tensor_operation12element_wise11PassThroughES9_S9_LNS7_6device18GemmSpecializationE0ELi128ELi16ELi128ELi128ELi8ELi32ELi16ELi16ELi1ELi4ENS_8SequenceIJLi16ELi8ELi1EEEENSC_IJLi1ELi0ELi2EEEESE_Li2ELi8ELi8ELb0ELi0ENSC_IJLi4ELi32ELi1EEEESE_SE_Li2ELi32ELi32ELb0ELi0ELi1ELi1ENSC_IJLi1ELi16ELi1ELi8EEEELi4ELNS_26BlockGemmPipelineSchedulerE1ELNS_24BlockGemmPipelineVersionE1EDF16_DF16_Lb0ELb1ELb0ELi0ELb0EEELb1ELNS_25InMemoryDataOperationEnumE1ELi2ELNS_10TailNumberE2EEEvNT_8ArgumentE.numbered_sgpr, 30
	.set _ZN2ck27kernel_gemm_xdl_cshuffle_v3INS_28GridwiseGemm_xdl_cshuffle_v3INS_13tensor_layout4gemm8RowMajorENS3_11ColumnMajorES4_DF16_NS_7pk_i4_tEfDF16_DF16_NS_16tensor_operation12element_wise11PassThroughES9_S9_LNS7_6device18GemmSpecializationE0ELi128ELi16ELi128ELi128ELi8ELi32ELi16ELi16ELi1ELi4ENS_8SequenceIJLi16ELi8ELi1EEEENSC_IJLi1ELi0ELi2EEEESE_Li2ELi8ELi8ELb0ELi0ENSC_IJLi4ELi32ELi1EEEESE_SE_Li2ELi32ELi32ELb0ELi0ELi1ELi1ENSC_IJLi1ELi16ELi1ELi8EEEELi4ELNS_26BlockGemmPipelineSchedulerE1ELNS_24BlockGemmPipelineVersionE1EDF16_DF16_Lb0ELb1ELb0ELi0ELb0EEELb1ELNS_25InMemoryDataOperationEnumE1ELi2ELNS_10TailNumberE2EEEvNT_8ArgumentE.num_named_barrier, 0
	.set _ZN2ck27kernel_gemm_xdl_cshuffle_v3INS_28GridwiseGemm_xdl_cshuffle_v3INS_13tensor_layout4gemm8RowMajorENS3_11ColumnMajorES4_DF16_NS_7pk_i4_tEfDF16_DF16_NS_16tensor_operation12element_wise11PassThroughES9_S9_LNS7_6device18GemmSpecializationE0ELi128ELi16ELi128ELi128ELi8ELi32ELi16ELi16ELi1ELi4ENS_8SequenceIJLi16ELi8ELi1EEEENSC_IJLi1ELi0ELi2EEEESE_Li2ELi8ELi8ELb0ELi0ENSC_IJLi4ELi32ELi1EEEESE_SE_Li2ELi32ELi32ELb0ELi0ELi1ELi1ENSC_IJLi1ELi16ELi1ELi8EEEELi4ELNS_26BlockGemmPipelineSchedulerE1ELNS_24BlockGemmPipelineVersionE1EDF16_DF16_Lb0ELb1ELb0ELi0ELb0EEELb1ELNS_25InMemoryDataOperationEnumE1ELi2ELNS_10TailNumberE2EEEvNT_8ArgumentE.private_seg_size, 0
	.set _ZN2ck27kernel_gemm_xdl_cshuffle_v3INS_28GridwiseGemm_xdl_cshuffle_v3INS_13tensor_layout4gemm8RowMajorENS3_11ColumnMajorES4_DF16_NS_7pk_i4_tEfDF16_DF16_NS_16tensor_operation12element_wise11PassThroughES9_S9_LNS7_6device18GemmSpecializationE0ELi128ELi16ELi128ELi128ELi8ELi32ELi16ELi16ELi1ELi4ENS_8SequenceIJLi16ELi8ELi1EEEENSC_IJLi1ELi0ELi2EEEESE_Li2ELi8ELi8ELb0ELi0ENSC_IJLi4ELi32ELi1EEEESE_SE_Li2ELi32ELi32ELb0ELi0ELi1ELi1ENSC_IJLi1ELi16ELi1ELi8EEEELi4ELNS_26BlockGemmPipelineSchedulerE1ELNS_24BlockGemmPipelineVersionE1EDF16_DF16_Lb0ELb1ELb0ELi0ELb0EEELb1ELNS_25InMemoryDataOperationEnumE1ELi2ELNS_10TailNumberE2EEEvNT_8ArgumentE.uses_vcc, 1
	.set _ZN2ck27kernel_gemm_xdl_cshuffle_v3INS_28GridwiseGemm_xdl_cshuffle_v3INS_13tensor_layout4gemm8RowMajorENS3_11ColumnMajorES4_DF16_NS_7pk_i4_tEfDF16_DF16_NS_16tensor_operation12element_wise11PassThroughES9_S9_LNS7_6device18GemmSpecializationE0ELi128ELi16ELi128ELi128ELi8ELi32ELi16ELi16ELi1ELi4ENS_8SequenceIJLi16ELi8ELi1EEEENSC_IJLi1ELi0ELi2EEEESE_Li2ELi8ELi8ELb0ELi0ENSC_IJLi4ELi32ELi1EEEESE_SE_Li2ELi32ELi32ELb0ELi0ELi1ELi1ENSC_IJLi1ELi16ELi1ELi8EEEELi4ELNS_26BlockGemmPipelineSchedulerE1ELNS_24BlockGemmPipelineVersionE1EDF16_DF16_Lb0ELb1ELb0ELi0ELb0EEELb1ELNS_25InMemoryDataOperationEnumE1ELi2ELNS_10TailNumberE2EEEvNT_8ArgumentE.uses_flat_scratch, 0
	.set _ZN2ck27kernel_gemm_xdl_cshuffle_v3INS_28GridwiseGemm_xdl_cshuffle_v3INS_13tensor_layout4gemm8RowMajorENS3_11ColumnMajorES4_DF16_NS_7pk_i4_tEfDF16_DF16_NS_16tensor_operation12element_wise11PassThroughES9_S9_LNS7_6device18GemmSpecializationE0ELi128ELi16ELi128ELi128ELi8ELi32ELi16ELi16ELi1ELi4ENS_8SequenceIJLi16ELi8ELi1EEEENSC_IJLi1ELi0ELi2EEEESE_Li2ELi8ELi8ELb0ELi0ENSC_IJLi4ELi32ELi1EEEESE_SE_Li2ELi32ELi32ELb0ELi0ELi1ELi1ENSC_IJLi1ELi16ELi1ELi8EEEELi4ELNS_26BlockGemmPipelineSchedulerE1ELNS_24BlockGemmPipelineVersionE1EDF16_DF16_Lb0ELb1ELb0ELi0ELb0EEELb1ELNS_25InMemoryDataOperationEnumE1ELi2ELNS_10TailNumberE2EEEvNT_8ArgumentE.has_dyn_sized_stack, 0
	.set _ZN2ck27kernel_gemm_xdl_cshuffle_v3INS_28GridwiseGemm_xdl_cshuffle_v3INS_13tensor_layout4gemm8RowMajorENS3_11ColumnMajorES4_DF16_NS_7pk_i4_tEfDF16_DF16_NS_16tensor_operation12element_wise11PassThroughES9_S9_LNS7_6device18GemmSpecializationE0ELi128ELi16ELi128ELi128ELi8ELi32ELi16ELi16ELi1ELi4ENS_8SequenceIJLi16ELi8ELi1EEEENSC_IJLi1ELi0ELi2EEEESE_Li2ELi8ELi8ELb0ELi0ENSC_IJLi4ELi32ELi1EEEESE_SE_Li2ELi32ELi32ELb0ELi0ELi1ELi1ENSC_IJLi1ELi16ELi1ELi8EEEELi4ELNS_26BlockGemmPipelineSchedulerE1ELNS_24BlockGemmPipelineVersionE1EDF16_DF16_Lb0ELb1ELb0ELi0ELb0EEELb1ELNS_25InMemoryDataOperationEnumE1ELi2ELNS_10TailNumberE2EEEvNT_8ArgumentE.has_recursion, 0
	.set _ZN2ck27kernel_gemm_xdl_cshuffle_v3INS_28GridwiseGemm_xdl_cshuffle_v3INS_13tensor_layout4gemm8RowMajorENS3_11ColumnMajorES4_DF16_NS_7pk_i4_tEfDF16_DF16_NS_16tensor_operation12element_wise11PassThroughES9_S9_LNS7_6device18GemmSpecializationE0ELi128ELi16ELi128ELi128ELi8ELi32ELi16ELi16ELi1ELi4ENS_8SequenceIJLi16ELi8ELi1EEEENSC_IJLi1ELi0ELi2EEEESE_Li2ELi8ELi8ELb0ELi0ENSC_IJLi4ELi32ELi1EEEESE_SE_Li2ELi32ELi32ELb0ELi0ELi1ELi1ENSC_IJLi1ELi16ELi1ELi8EEEELi4ELNS_26BlockGemmPipelineSchedulerE1ELNS_24BlockGemmPipelineVersionE1EDF16_DF16_Lb0ELb1ELb0ELi0ELb0EEELb1ELNS_25InMemoryDataOperationEnumE1ELi2ELNS_10TailNumberE2EEEvNT_8ArgumentE.has_indirect_call, 0
	.section	.AMDGPU.csdata,"",@progbits
; Kernel info:
; codeLenInByte = 10300
; TotalNumSgprs: 36
; NumVgprs: 164
; NumAgprs: 0
; TotalNumVgprs: 164
; ScratchSize: 0
; MemoryBound: 0
; FloatMode: 240
; IeeeMode: 1
; LDSByteSize: 12288 bytes/workgroup (compile time only)
; SGPRBlocks: 10
; VGPRBlocks: 20
; NumSGPRsForWavesPerEU: 81
; NumVGPRsForWavesPerEU: 164
; AccumOffset: 164
; Occupancy: 3
; WaveLimiterHint : 0
; COMPUTE_PGM_RSRC2:SCRATCH_EN: 0
; COMPUTE_PGM_RSRC2:USER_SGPR: 2
; COMPUTE_PGM_RSRC2:TRAP_HANDLER: 0
; COMPUTE_PGM_RSRC2:TGID_X_EN: 1
; COMPUTE_PGM_RSRC2:TGID_Y_EN: 0
; COMPUTE_PGM_RSRC2:TGID_Z_EN: 1
; COMPUTE_PGM_RSRC2:TIDIG_COMP_CNT: 0
; COMPUTE_PGM_RSRC3_GFX90A:ACCUM_OFFSET: 40
; COMPUTE_PGM_RSRC3_GFX90A:TG_SPLIT: 0
	.section	.text._ZN2ck27kernel_gemm_xdl_cshuffle_v3INS_28GridwiseGemm_xdl_cshuffle_v3INS_13tensor_layout4gemm8RowMajorENS3_11ColumnMajorES4_DF16_NS_7pk_i4_tEfDF16_DF16_NS_16tensor_operation12element_wise11PassThroughES9_S9_LNS7_6device18GemmSpecializationE0ELi128ELi16ELi128ELi128ELi8ELi32ELi16ELi16ELi1ELi4ENS_8SequenceIJLi16ELi8ELi1EEEENSC_IJLi1ELi0ELi2EEEESE_Li2ELi8ELi8ELb0ELi0ENSC_IJLi4ELi32ELi1EEEESE_SE_Li2ELi32ELi32ELb0ELi0ELi1ELi1ENSC_IJLi1ELi16ELi1ELi8EEEELi4ELNS_26BlockGemmPipelineSchedulerE1ELNS_24BlockGemmPipelineVersionE1EDF16_DF16_Lb0ELb1ELb0ELi0ELb0EEELb1ELNS_25InMemoryDataOperationEnumE1ELi2ELNS_10TailNumberE10EEEvNT_8ArgumentE,"axG",@progbits,_ZN2ck27kernel_gemm_xdl_cshuffle_v3INS_28GridwiseGemm_xdl_cshuffle_v3INS_13tensor_layout4gemm8RowMajorENS3_11ColumnMajorES4_DF16_NS_7pk_i4_tEfDF16_DF16_NS_16tensor_operation12element_wise11PassThroughES9_S9_LNS7_6device18GemmSpecializationE0ELi128ELi16ELi128ELi128ELi8ELi32ELi16ELi16ELi1ELi4ENS_8SequenceIJLi16ELi8ELi1EEEENSC_IJLi1ELi0ELi2EEEESE_Li2ELi8ELi8ELb0ELi0ENSC_IJLi4ELi32ELi1EEEESE_SE_Li2ELi32ELi32ELb0ELi0ELi1ELi1ENSC_IJLi1ELi16ELi1ELi8EEEELi4ELNS_26BlockGemmPipelineSchedulerE1ELNS_24BlockGemmPipelineVersionE1EDF16_DF16_Lb0ELb1ELb0ELi0ELb0EEELb1ELNS_25InMemoryDataOperationEnumE1ELi2ELNS_10TailNumberE10EEEvNT_8ArgumentE,comdat
	.protected	_ZN2ck27kernel_gemm_xdl_cshuffle_v3INS_28GridwiseGemm_xdl_cshuffle_v3INS_13tensor_layout4gemm8RowMajorENS3_11ColumnMajorES4_DF16_NS_7pk_i4_tEfDF16_DF16_NS_16tensor_operation12element_wise11PassThroughES9_S9_LNS7_6device18GemmSpecializationE0ELi128ELi16ELi128ELi128ELi8ELi32ELi16ELi16ELi1ELi4ENS_8SequenceIJLi16ELi8ELi1EEEENSC_IJLi1ELi0ELi2EEEESE_Li2ELi8ELi8ELb0ELi0ENSC_IJLi4ELi32ELi1EEEESE_SE_Li2ELi32ELi32ELb0ELi0ELi1ELi1ENSC_IJLi1ELi16ELi1ELi8EEEELi4ELNS_26BlockGemmPipelineSchedulerE1ELNS_24BlockGemmPipelineVersionE1EDF16_DF16_Lb0ELb1ELb0ELi0ELb0EEELb1ELNS_25InMemoryDataOperationEnumE1ELi2ELNS_10TailNumberE10EEEvNT_8ArgumentE ; -- Begin function _ZN2ck27kernel_gemm_xdl_cshuffle_v3INS_28GridwiseGemm_xdl_cshuffle_v3INS_13tensor_layout4gemm8RowMajorENS3_11ColumnMajorES4_DF16_NS_7pk_i4_tEfDF16_DF16_NS_16tensor_operation12element_wise11PassThroughES9_S9_LNS7_6device18GemmSpecializationE0ELi128ELi16ELi128ELi128ELi8ELi32ELi16ELi16ELi1ELi4ENS_8SequenceIJLi16ELi8ELi1EEEENSC_IJLi1ELi0ELi2EEEESE_Li2ELi8ELi8ELb0ELi0ENSC_IJLi4ELi32ELi1EEEESE_SE_Li2ELi32ELi32ELb0ELi0ELi1ELi1ENSC_IJLi1ELi16ELi1ELi8EEEELi4ELNS_26BlockGemmPipelineSchedulerE1ELNS_24BlockGemmPipelineVersionE1EDF16_DF16_Lb0ELb1ELb0ELi0ELb0EEELb1ELNS_25InMemoryDataOperationEnumE1ELi2ELNS_10TailNumberE10EEEvNT_8ArgumentE
	.globl	_ZN2ck27kernel_gemm_xdl_cshuffle_v3INS_28GridwiseGemm_xdl_cshuffle_v3INS_13tensor_layout4gemm8RowMajorENS3_11ColumnMajorES4_DF16_NS_7pk_i4_tEfDF16_DF16_NS_16tensor_operation12element_wise11PassThroughES9_S9_LNS7_6device18GemmSpecializationE0ELi128ELi16ELi128ELi128ELi8ELi32ELi16ELi16ELi1ELi4ENS_8SequenceIJLi16ELi8ELi1EEEENSC_IJLi1ELi0ELi2EEEESE_Li2ELi8ELi8ELb0ELi0ENSC_IJLi4ELi32ELi1EEEESE_SE_Li2ELi32ELi32ELb0ELi0ELi1ELi1ENSC_IJLi1ELi16ELi1ELi8EEEELi4ELNS_26BlockGemmPipelineSchedulerE1ELNS_24BlockGemmPipelineVersionE1EDF16_DF16_Lb0ELb1ELb0ELi0ELb0EEELb1ELNS_25InMemoryDataOperationEnumE1ELi2ELNS_10TailNumberE10EEEvNT_8ArgumentE
	.p2align	8
	.type	_ZN2ck27kernel_gemm_xdl_cshuffle_v3INS_28GridwiseGemm_xdl_cshuffle_v3INS_13tensor_layout4gemm8RowMajorENS3_11ColumnMajorES4_DF16_NS_7pk_i4_tEfDF16_DF16_NS_16tensor_operation12element_wise11PassThroughES9_S9_LNS7_6device18GemmSpecializationE0ELi128ELi16ELi128ELi128ELi8ELi32ELi16ELi16ELi1ELi4ENS_8SequenceIJLi16ELi8ELi1EEEENSC_IJLi1ELi0ELi2EEEESE_Li2ELi8ELi8ELb0ELi0ENSC_IJLi4ELi32ELi1EEEESE_SE_Li2ELi32ELi32ELb0ELi0ELi1ELi1ENSC_IJLi1ELi16ELi1ELi8EEEELi4ELNS_26BlockGemmPipelineSchedulerE1ELNS_24BlockGemmPipelineVersionE1EDF16_DF16_Lb0ELb1ELb0ELi0ELb0EEELb1ELNS_25InMemoryDataOperationEnumE1ELi2ELNS_10TailNumberE10EEEvNT_8ArgumentE,@function
_ZN2ck27kernel_gemm_xdl_cshuffle_v3INS_28GridwiseGemm_xdl_cshuffle_v3INS_13tensor_layout4gemm8RowMajorENS3_11ColumnMajorES4_DF16_NS_7pk_i4_tEfDF16_DF16_NS_16tensor_operation12element_wise11PassThroughES9_S9_LNS7_6device18GemmSpecializationE0ELi128ELi16ELi128ELi128ELi8ELi32ELi16ELi16ELi1ELi4ENS_8SequenceIJLi16ELi8ELi1EEEENSC_IJLi1ELi0ELi2EEEESE_Li2ELi8ELi8ELb0ELi0ENSC_IJLi4ELi32ELi1EEEESE_SE_Li2ELi32ELi32ELb0ELi0ELi1ELi1ENSC_IJLi1ELi16ELi1ELi8EEEELi4ELNS_26BlockGemmPipelineSchedulerE1ELNS_24BlockGemmPipelineVersionE1EDF16_DF16_Lb0ELb1ELb0ELi0ELb0EEELb1ELNS_25InMemoryDataOperationEnumE1ELi2ELNS_10TailNumberE10EEEvNT_8ArgumentE: ; @_ZN2ck27kernel_gemm_xdl_cshuffle_v3INS_28GridwiseGemm_xdl_cshuffle_v3INS_13tensor_layout4gemm8RowMajorENS3_11ColumnMajorES4_DF16_NS_7pk_i4_tEfDF16_DF16_NS_16tensor_operation12element_wise11PassThroughES9_S9_LNS7_6device18GemmSpecializationE0ELi128ELi16ELi128ELi128ELi8ELi32ELi16ELi16ELi1ELi4ENS_8SequenceIJLi16ELi8ELi1EEEENSC_IJLi1ELi0ELi2EEEESE_Li2ELi8ELi8ELb0ELi0ENSC_IJLi4ELi32ELi1EEEESE_SE_Li2ELi32ELi32ELb0ELi0ELi1ELi1ENSC_IJLi1ELi16ELi1ELi8EEEELi4ELNS_26BlockGemmPipelineSchedulerE1ELNS_24BlockGemmPipelineVersionE1EDF16_DF16_Lb0ELb1ELb0ELi0ELb0EEELb1ELNS_25InMemoryDataOperationEnumE1ELi2ELNS_10TailNumberE10EEEvNT_8ArgumentE
; %bb.0:
	s_load_dwordx8 s[4:11], s[0:1], 0x10
	s_load_dwordx2 s[16:17], s[0:1], 0x60
	s_waitcnt lgkmcnt(0)
	s_load_dword s11, s[0:1], 0x68
	s_load_dword s22, s[0:1], 0x3c
	s_load_dwordx4 s[12:15], s[0:1], 0x50
	s_cmp_gt_i32 s10, 1
	s_cselect_b64 s[18:19], -1, 0
	s_waitcnt lgkmcnt(0)
	s_bitcmp1_b32 s11, 0
	s_cselect_b64 s[20:21], -1, 0
	s_and_b64 s[18:19], s[18:19], s[20:21]
	s_andn2_b64 vcc, exec, s[18:19]
	s_mov_b64 s[18:19], 0
	s_cbranch_vccnz .LBB2_2
; %bb.1:
	s_mul_i32 s11, s4, s3
	s_mul_i32 s18, s11, s5
	s_ashr_i32 s19, s18, 31
.LBB2_2:
	s_load_dword s23, s[0:1], 0x34
	s_add_i32 s20, s4, -1
	s_cmp_lt_u32 s20, 16
	s_mov_b32 s21, 0
	s_cbranch_scc1 .LBB2_6
; %bb.3:
	s_add_i32 s0, s5, -1
	s_cmpk_lt_u32 s0, 0x80
	s_mov_b32 s0, 0
	s_cbranch_scc1 .LBB2_10
; %bb.4:
	s_add_i32 s0, s4, 15
	s_ashr_i32 s1, s0, 31
	s_lshr_b32 s1, s1, 28
	s_add_i32 s0, s0, s1
	s_ashr_i32 s24, s0, 4
	s_add_i32 s0, s5, 0x7f
	s_ashr_i32 s1, s0, 31
	s_lshr_b32 s1, s1, 25
	s_add_i32 s0, s0, s1
	s_ashr_i32 s11, s0, 7
	s_mul_i32 s0, s11, s24
	s_add_i32 s1, s0, 7
	s_ashr_i32 s25, s1, 31
	s_lshr_b32 s25, s25, 29
	s_add_i32 s1, s1, s25
	s_ashr_i32 s25, s1, 3
	s_and_b32 s1, s1, -8
	s_sub_i32 s26, s0, s1
	s_ashr_i32 s0, s2, 31
	s_lshr_b32 s0, s0, 29
	s_add_i32 s28, s2, s0
	s_and_b32 s0, s28, -8
	s_add_i32 s26, s26, 8
	s_sub_i32 s27, s2, s0
	s_cmp_gt_i32 s27, s26
	s_cbranch_scc1 .LBB2_7
; %bb.5:
	s_mul_i32 s2, s25, s27
	s_ashr_i32 s0, s28, 3
	s_cbranch_execz .LBB2_8
	s_branch .LBB2_9
.LBB2_6:
	s_mov_b32 s11, 0
	s_branch .LBB2_11
.LBB2_7:
                                        ; implicit-def: $sgpr2
	s_ashr_i32 s0, s28, 3
.LBB2_8:
	s_add_i32 s1, s25, -1
	s_mul_i32 s1, s1, s27
	s_add_i32 s2, s26, s1
.LBB2_9:
	s_abs_i32 s1, s11
	v_cvt_f32_u32_e32 v1, s1
	s_sub_i32 s26, 0, s1
	s_add_i32 s0, s2, s0
	s_abs_i32 s25, s0
	v_rcp_iflag_f32_e32 v1, v1
	s_xor_b32 s2, s0, s11
	s_ashr_i32 s2, s2, 31
	v_mul_f32_e32 v1, 0x4f7ffffe, v1
	v_cvt_u32_f32_e32 v1, v1
	s_nop 0
	v_readfirstlane_b32 s27, v1
	s_mul_i32 s26, s26, s27
	s_mul_hi_u32 s26, s27, s26
	s_add_i32 s27, s27, s26
	s_mul_hi_u32 s26, s25, s27
	s_mul_i32 s27, s26, s1
	s_sub_i32 s25, s25, s27
	s_add_i32 s28, s26, 1
	s_sub_i32 s27, s25, s1
	s_cmp_ge_u32 s25, s1
	s_cselect_b32 s26, s28, s26
	s_cselect_b32 s25, s27, s25
	s_add_i32 s27, s26, 1
	s_cmp_ge_u32 s25, s1
	s_cselect_b32 s1, s27, s26
	s_xor_b32 s1, s1, s2
	s_lshr_b32 s25, s24, 30
	s_sub_i32 s1, s1, s2
	s_add_i32 s25, s24, s25
	s_mul_i32 s2, s1, s11
	s_sub_i32 s0, s0, s2
	s_and_b32 s2, s25, -4
	s_sub_i32 s24, s24, s2
	s_cmp_ge_i32 s1, s2
	s_cselect_b32 s2, s24, 4
	s_abs_i32 s25, s2
	v_cvt_f32_u32_e32 v1, s25
	s_ashr_i32 s24, s1, 31
	s_lshr_b32 s24, s24, 30
	s_add_i32 s24, s1, s24
	v_rcp_iflag_f32_e32 v1, v1
	s_and_b32 s24, s24, -4
	s_sub_i32 s24, s1, s24
	s_sub_i32 s27, 0, s25
	v_mul_f32_e32 v1, 0x4f7ffffe, v1
	v_cvt_u32_f32_e32 v1, v1
	s_mul_i32 s11, s24, s11
	s_add_i32 s11, s11, s0
	s_abs_i32 s26, s11
	v_readfirstlane_b32 s28, v1
	s_mul_i32 s27, s27, s28
	s_mul_hi_u32 s27, s28, s27
	s_add_i32 s28, s28, s27
	s_mul_hi_u32 s27, s26, s28
	s_mul_i32 s28, s27, s25
	s_xor_b32 s0, s11, s2
	s_sub_i32 s26, s26, s28
	s_ashr_i32 s0, s0, 31
	s_add_i32 s28, s27, 1
	s_sub_i32 s29, s26, s25
	s_cmp_ge_u32 s26, s25
	s_cselect_b32 s27, s28, s27
	s_cselect_b32 s26, s29, s26
	s_add_i32 s28, s27, 1
	s_cmp_ge_u32 s26, s25
	s_cselect_b32 s25, s28, s27
	s_xor_b32 s25, s25, s0
	s_sub_i32 s0, s25, s0
	s_mul_i32 s2, s0, s2
	s_sub_i32 s2, s11, s2
	s_add_i32 s2, s2, s1
	s_sub_i32 s2, s2, s24
.LBB2_10:
	s_mov_b32 s11, s2
	s_mov_b32 s2, s0
.LBB2_11:
	s_waitcnt lgkmcnt(0)
	s_mul_i32 s0, s23, s3
	s_mul_i32 s1, s0, s5
	s_lshr_b32 s24, s1, 1
	s_ashr_i32 s1, s0, 31
	s_lshl_b64 s[0:1], s[0:1], 1
	s_add_u32 s0, s12, s0
	s_addc_u32 s1, s13, s1
	s_add_u32 s12, s14, s24
	s_addc_u32 s13, s15, 0
	s_ashr_i32 s15, s8, 31
	s_lshr_b32 s15, s15, 25
	s_add_i32 s10, s10, -1
	s_add_i32 s8, s8, s15
	s_mul_i32 s24, s10, s23
	v_lshrrev_b32_e32 v1, 3, v0
	s_ashr_i32 s15, s8, 7
	s_lshl_b32 s8, s5, 7
	s_sub_i32 s6, s6, s24
	v_and_b32_e32 v34, 14, v1
	s_cmp_lt_u32 s3, s10
	v_lshl_or_b32 v2, s11, 4, v34
	s_mul_i32 s14, s20, s7
	s_cselect_b32 s3, s23, s6
	v_and_b32_e32 v72, 15, v0
	v_mul_lo_u32 v35, v2, s7
	s_lshl_b32 s6, s2, 7
	v_lshl_add_u32 v18, v72, 3, v35
	v_and_b32_e32 v19, 0x7c, v0
	v_and_b32_e32 v36, 3, v0
	s_add_i32 s3, s3, s14
	v_or_b32_e32 v2, s6, v19
	v_lshlrev_b32_e32 v3, 5, v36
	s_lshl_b32 s2, s3, 1
	s_and_b32 s1, s1, 0xffff
	s_mov_b32 s3, 0x20000
	v_lshlrev_b32_e32 v10, 1, v18
	v_lshl_or_b32 v20, v2, 7, v3
	v_add_lshl_u32 v11, v18, s7, 1
	buffer_load_dwordx4 v[2:5], v10, s[0:3], 0 offen
	buffer_load_dwordx4 v[6:9], v11, s[0:3], 0 offen
	s_mul_i32 s10, s5, s15
	v_ashrrev_i32_e32 v21, 1, v20
	s_lshl_b32 s14, s10, 6
	s_and_b32 s13, s13, 0xffff
	s_mov_b32 s15, s3
	buffer_load_dwordx4 v[10:13], v21, s[12:15], 0 offen
	buffer_load_dwordx4 v[14:17], v21, s[12:15], 0 offen offset:64
	buffer_load_dwordx4 v[26:29], v21, s[12:15], 0 offen offset:128
	v_or_b32_e32 v20, 0x180, v20
	v_ashrrev_i32_e32 v23, 1, v20
	buffer_load_dwordx4 v[30:33], v23, s[12:15], 0 offen
	v_lshlrev_b32_e32 v21, 1, v0
	v_lshrrev_b32_e32 v22, 2, v0
	v_and_b32_e32 v21, 0x60, v21
	v_and_b32_e32 v73, 16, v22
	;; [unrolled: 1-line block ×3, first 2 shown]
	v_bitop3_b32 v82, v1, v72, 14 bitop3:0x6c
	v_lshlrev_b32_e32 v22, 7, v34
	v_lshrrev_b32_e32 v41, 3, v21
	v_or_b32_e32 v24, v73, v72
	v_lshrrev_b32_e32 v42, 4, v21
	v_bitop3_b32 v21, v34, v72, 1 bitop3:0x36
	v_lshrrev_b32_e32 v38, 1, v19
	v_lshlrev_b32_e32 v39, 1, v36
	v_lshl_or_b32 v22, v82, 3, v22
	v_lshrrev_b32_e32 v24, 1, v24
	v_or_b32_e32 v25, v42, v37
	v_sub_u32_e32 v44, v21, v82
	v_sub_u32_e32 v21, v82, v21
	v_lshlrev_b32_e32 v19, 7, v19
	v_and_b32_e32 v23, 6, v38
	v_bitop3_b32 v40, v38, v39, 6 bitop3:0x6c
	v_bitop3_b32 v45, v24, v25, 7 bitop3:0x6c
	v_lshlrev_b32_e32 v25, 1, v22
	v_lshlrev_b32_e32 v46, 3, v44
	;; [unrolled: 1-line block ×3, first 2 shown]
	v_lshl_or_b32 v19, v40, 5, v19
	v_add3_u32 v62, v46, v22, v21
	v_lshl_add_u32 v21, v44, 4, v25
	v_bitop3_b32 v44, v39, v23, 1 bitop3:0x36
	v_lshrrev_b32_e32 v47, 1, v19
	s_add_i32 s25, s8, 0xfffffe80
	v_add_u32_e32 v22, s25, v20
	v_lshlrev_b32_e32 v24, 8, v24
	v_add_u32_e32 v18, 0x80, v18
	v_add_u32_e32 v52, s8, v20
	v_lshl_or_b32 v48, v45, 5, v24
	v_lshlrev_b32_e32 v49, 1, v18
	v_add_lshl_u32 v50, v18, s7, 1
	v_ashrrev_i32_e32 v53, 1, v52
	v_bitop3_b32 v43, v41, v0, 15 bitop3:0x78
	s_ashr_i32 s10, s22, 31
	v_or_b32_e32 v88, 1, v1
	s_lshr_b32 s10, s10, 28
	s_add_i32 s22, s22, s10
	s_ashr_i32 s10, s22, 4
	v_mov_b32_e32 v60, 2
	v_or_b32_e32 v87, 8, v36
	s_waitcnt vmcnt(5)
	ds_write_b128 v25, v[2:5]
	s_waitcnt vmcnt(4)
	ds_write_b128 v21, v[6:9] offset:256
	s_waitcnt vmcnt(3)
	ds_write_b128 v47, v[10:13] offset:4096
	v_sub_u32_e32 v2, v44, v40
	v_lshlrev_b32_e32 v83, 5, v2
	v_add_u32_e32 v46, v83, v19
	v_ashrrev_i32_e32 v2, 1, v46
	s_waitcnt vmcnt(2)
	ds_write_b128 v2, v[14:17] offset:4096
	v_ashrrev_i32_e32 v10, 1, v22
	v_add_u32_e32 v2, 0x80, v22
	v_ashrrev_i32_e32 v11, 1, v2
	buffer_load_dwordx4 v[2:5], v10, s[12:15], 0 offen
	buffer_load_dwordx4 v[6:9], v11, s[12:15], 0 offen
	v_add_u32_e32 v10, 0x100, v22
	v_ashrrev_i32_e32 v51, 1, v10
	buffer_load_dwordx4 v[10:13], v51, s[12:15], 0 offen
	buffer_load_dwordx4 v[14:17], v53, s[12:15], 0 offen
	;; [unrolled: 1-line block ×4, first 2 shown]
	v_lshrrev_b32_e32 v47, 1, v0
	v_or_b32_e32 v49, 1, v47
	v_sub_u32_e32 v50, v49, v38
	v_bitop3_b32 v51, v49, v39, 7 bitop3:0x6c
	v_sub_u32_e32 v44, v51, v44
	v_lshlrev_b32_e32 v50, 8, v50
	v_lshl_add_u32 v84, v44, 5, v50
	v_add_u32_e32 v44, v84, v46
	v_bitop3_b32 v47, v47, 7, 1 bitop3:0xc8
	v_ashrrev_i32_e32 v46, 1, v44
	s_waitcnt vmcnt(7)
	ds_write_b128 v46, v[26:29] offset:4096
	v_bitop3_b32 v26, v39, v47, 1 bitop3:0x36
	v_sub_u32_e32 v27, v26, v51
	v_lshlrev_b32_e32 v85, 5, v27
	v_add_u32_e32 v27, v44, v85
	v_ashrrev_i32_e32 v28, 1, v27
	s_waitcnt vmcnt(6)
	ds_write_b128 v28, v[30:33] offset:4096
	v_sub_u32_e32 v28, v38, v49
	v_sub_u32_e32 v26, v40, v26
	v_lshlrev_b32_e32 v28, 8, v28
	v_lshl_add_u32 v86, v26, 5, v28
	v_lshlrev_b32_e32 v26, 8, v72
	v_lshl_or_b32 v77, v43, 4, v26
	v_bitop3_b32 v26, v41, v72, 1 bitop3:0x36
	v_sub_u32_e32 v26, v26, v43
	v_lshl_add_u32 v78, v26, 4, v77
	v_bitop3_b32 v26, v41, v72, 2 bitop3:0x36
	v_sub_u32_e32 v26, v26, v43
	v_lshl_add_u32 v79, v26, 4, v77
	v_bitop3_b32 v26, v41, v72, 3 bitop3:0x36
	v_sub_u32_e32 v26, v26, v43
	v_lshl_add_u32 v80, v26, 4, v77
	v_bfe_u32 v26, v0, 1, 3
	v_bitop3_b32 v26, v42, v26, v37 bitop3:0x36
	v_sub_u32_e32 v26, v26, v45
	v_lshl_add_u32 v26, v26, 5, v48
	v_add_u32_e32 v71, v27, v86
	v_add_u32_e32 v27, 0x1000, v26
	v_lshrrev_b32_e32 v76, 1, v27
	v_add_u32_e32 v27, 0x2000, v26
	v_add_u32_e32 v26, 0x3000, v26
	v_lshrrev_b32_e32 v74, 1, v26
	v_sub_u32_e32 v26, v88, v34
	v_lshrrev_b32_e32 v75, 1, v27
	v_lshlrev_b32_e32 v89, 7, v26
	v_add_u32_e32 v90, -1, v26
	v_add_u32_e32 v26, s7, v35
	v_lshlrev_b32_e32 v27, 4, v72
	v_lshl_add_u32 v98, v26, 1, v27
	v_mov_b32_e32 v26, 0
	v_add_u32_e32 v58, s25, v52
	s_add_i32 s10, s10, -2
	v_lshrrev_b32_e32 v81, 1, v48
	v_lshl_add_u32 v99, v35, 1, v27
	v_mov_b32_e32 v91, 0xf000f
	v_mov_b32_e32 v92, 0x64006400
	;; [unrolled: 1-line block ×22, first 2 shown]
.LBB2_12:                               ; =>This Inner Loop Header: Depth=1
	s_waitcnt lgkmcnt(0)
	s_barrier
	ds_read_b128 v[64:67], v81 offset:4096
	ds_read_b128 v[54:57], v77
	ds_read_b128 v[50:53], v78
	;; [unrolled: 1-line block ×4, first 2 shown]
	s_waitcnt lgkmcnt(4)
	;;#ASMSTART
	v_and_or_b32 v59, v64, v91, v92
	;;#ASMEND
	;;#ASMSTART
	v_and_or_b32 v61, v64, v93, v92
	;;#ASMEND
	s_nop 0
	;;#ASMSTART
	v_pk_add_f16 v100, v59, v94
	;;#ASMEND
	v_ashrrev_i32_e32 v59, 8, v64
	;;#ASMSTART
	v_pk_fma_f16 v101, v61, v95, v96
	;;#ASMEND
	;;#ASMSTART
	v_and_or_b32 v61, v59, v91, v92
	;;#ASMEND
	;;#ASMSTART
	v_and_or_b32 v59, v59, v93, v92
	;;#ASMEND
	s_nop 0
	;;#ASMSTART
	v_pk_add_f16 v102, v61, v94
	;;#ASMEND
	;;#ASMSTART
	v_pk_fma_f16 v103, v59, v95, v96
	;;#ASMEND
	;;#ASMSTART
	v_and_or_b32 v59, v65, v91, v92
	;;#ASMEND
	;;#ASMSTART
	v_and_or_b32 v61, v65, v93, v92
	;;#ASMEND
	s_nop 0
	;;#ASMSTART
	v_pk_add_f16 v104, v59, v94
	;;#ASMEND
	v_ashrrev_i32_e32 v59, 8, v65
	;;#ASMSTART
	v_pk_fma_f16 v105, v61, v95, v96
	;;#ASMEND
	;;#ASMSTART
	v_and_or_b32 v61, v59, v91, v92
	;;#ASMEND
	;;#ASMSTART
	v_and_or_b32 v59, v59, v93, v92
	;;#ASMEND
	s_nop 0
	;;#ASMSTART
	v_pk_add_f16 v106, v61, v94
	;;#ASMEND
	;;#ASMSTART
	v_pk_fma_f16 v107, v59, v95, v96
	;;#ASMEND
	;; [unrolled: 27-line block ×4, first 2 shown]
	ds_read_b128 v[112:115], v76 offset:4096
	s_waitcnt lgkmcnt(0)
	;;#ASMSTART
	v_and_or_b32 v59, v112, v91, v92
	;;#ASMEND
	;;#ASMSTART
	v_and_or_b32 v61, v112, v93, v92
	;;#ASMEND
	s_nop 0
	;;#ASMSTART
	v_pk_add_f16 v116, v59, v94
	;;#ASMEND
	v_ashrrev_i32_e32 v59, 8, v112
	;;#ASMSTART
	v_pk_fma_f16 v117, v61, v95, v96
	;;#ASMEND
	;;#ASMSTART
	v_and_or_b32 v61, v59, v91, v92
	;;#ASMEND
	;;#ASMSTART
	v_and_or_b32 v59, v59, v93, v92
	;;#ASMEND
	s_nop 0
	;;#ASMSTART
	v_pk_add_f16 v118, v61, v94
	;;#ASMEND
	;;#ASMSTART
	v_pk_fma_f16 v119, v59, v95, v96
	;;#ASMEND
	;;#ASMSTART
	v_and_or_b32 v59, v113, v91, v92
	;;#ASMEND
	;;#ASMSTART
	v_and_or_b32 v61, v113, v93, v92
	;;#ASMEND
	s_nop 0
	;;#ASMSTART
	v_pk_add_f16 v120, v59, v94
	;;#ASMEND
	v_ashrrev_i32_e32 v59, 8, v113
	;;#ASMSTART
	v_pk_fma_f16 v121, v61, v95, v96
	;;#ASMEND
	;;#ASMSTART
	v_and_or_b32 v61, v59, v91, v92
	;;#ASMEND
	;;#ASMSTART
	v_and_or_b32 v59, v59, v93, v92
	;;#ASMEND
	s_nop 0
	;;#ASMSTART
	v_pk_add_f16 v122, v61, v94
	;;#ASMEND
	;;#ASMSTART
	v_pk_fma_f16 v123, v59, v95, v96
	;;#ASMEND
	;; [unrolled: 27-line block ×4, first 2 shown]
	ds_read_b128 v[128:131], v75 offset:4096
	s_waitcnt lgkmcnt(0)
	;;#ASMSTART
	v_and_or_b32 v59, v128, v91, v92
	;;#ASMEND
	;;#ASMSTART
	v_and_or_b32 v61, v128, v93, v92
	;;#ASMEND
	s_nop 0
	;;#ASMSTART
	v_pk_add_f16 v132, v59, v94
	;;#ASMEND
	v_ashrrev_i32_e32 v59, 8, v128
	;;#ASMSTART
	v_pk_fma_f16 v133, v61, v95, v96
	;;#ASMEND
	;;#ASMSTART
	v_and_or_b32 v61, v59, v91, v92
	;;#ASMEND
	;;#ASMSTART
	v_and_or_b32 v59, v59, v93, v92
	;;#ASMEND
	s_nop 0
	;;#ASMSTART
	v_pk_add_f16 v134, v61, v94
	;;#ASMEND
	;;#ASMSTART
	v_pk_fma_f16 v135, v59, v95, v96
	;;#ASMEND
	;;#ASMSTART
	v_and_or_b32 v59, v129, v91, v92
	;;#ASMEND
	;;#ASMSTART
	v_and_or_b32 v61, v129, v93, v92
	;;#ASMEND
	s_nop 0
	;;#ASMSTART
	v_pk_add_f16 v136, v59, v94
	;;#ASMEND
	v_ashrrev_i32_e32 v59, 8, v129
	;;#ASMSTART
	v_pk_fma_f16 v137, v61, v95, v96
	;;#ASMEND
	;;#ASMSTART
	v_and_or_b32 v61, v59, v91, v92
	;;#ASMEND
	;;#ASMSTART
	v_and_or_b32 v59, v59, v93, v92
	;;#ASMEND
	s_nop 0
	;;#ASMSTART
	v_pk_add_f16 v138, v61, v94
	;;#ASMEND
	;;#ASMSTART
	v_pk_fma_f16 v139, v59, v95, v96
	;;#ASMEND
	;; [unrolled: 27-line block ×4, first 2 shown]
	ds_read_b128 v[144:147], v74 offset:4096
	s_waitcnt lgkmcnt(0)
	;;#ASMSTART
	v_and_or_b32 v59, v144, v91, v92
	;;#ASMEND
	;;#ASMSTART
	v_and_or_b32 v61, v144, v93, v92
	;;#ASMEND
	s_nop 0
	;;#ASMSTART
	v_pk_add_f16 v148, v59, v94
	;;#ASMEND
	v_ashrrev_i32_e32 v59, 8, v144
	;;#ASMSTART
	v_pk_fma_f16 v149, v61, v95, v96
	;;#ASMEND
	;;#ASMSTART
	v_and_or_b32 v61, v59, v91, v92
	;;#ASMEND
	;;#ASMSTART
	v_and_or_b32 v59, v59, v93, v92
	;;#ASMEND
	s_nop 0
	;;#ASMSTART
	v_pk_add_f16 v150, v61, v94
	;;#ASMEND
	;;#ASMSTART
	v_pk_fma_f16 v151, v59, v95, v96
	;;#ASMEND
	;;#ASMSTART
	v_and_or_b32 v59, v145, v91, v92
	;;#ASMEND
	;;#ASMSTART
	v_and_or_b32 v61, v145, v93, v92
	;;#ASMEND
	s_nop 0
	;;#ASMSTART
	v_pk_add_f16 v152, v59, v94
	;;#ASMEND
	v_ashrrev_i32_e32 v59, 8, v145
	;;#ASMSTART
	v_pk_fma_f16 v153, v61, v95, v96
	;;#ASMEND
	;;#ASMSTART
	v_and_or_b32 v61, v59, v91, v92
	;;#ASMEND
	;;#ASMSTART
	v_and_or_b32 v59, v59, v93, v92
	;;#ASMEND
	s_nop 0
	;;#ASMSTART
	v_pk_add_f16 v154, v61, v94
	;;#ASMEND
	;;#ASMSTART
	v_pk_fma_f16 v155, v59, v95, v96
	;;#ASMEND
	;; [unrolled: 27-line block ×4, first 2 shown]
	; sched_barrier mask(0x00000000)
	s_barrier
	; sched_barrier mask(0x00000000)
	v_mfma_f32_16x16x32_f16 v[38:41], v[54:57], v[100:103], v[38:41]
	v_mfma_f32_16x16x32_f16 v[38:41], v[50:53], v[104:107], v[38:41]
	;; [unrolled: 1-line block ×4, first 2 shown]
	; sched_barrier mask(0x00000000)
	s_setprio 1
	; sched_barrier mask(0x00000000)
	v_mfma_f32_16x16x32_f16 v[34:37], v[54:57], v[116:119], v[34:37]
	v_mfma_f32_16x16x32_f16 v[30:33], v[54:57], v[132:135], v[30:33]
	;; [unrolled: 1-line block ×8, first 2 shown]
	; sched_barrier mask(0x00000000)
	s_waitcnt lgkmcnt(0)
	s_barrier
	; sched_barrier mask(0x00000000)
	v_mfma_f32_16x16x32_f16 v[26:29], v[54:57], v[148:151], v[26:29]
	v_mfma_f32_16x16x32_f16 v[26:29], v[50:53], v[152:155], v[26:29]
	;; [unrolled: 1-line block ×4, first 2 shown]
	; sched_barrier mask(0x00000000)
	s_setprio 0
	; sched_barrier mask(0x00000000)
	v_lshlrev_b32_e32 v50, 1, v62
	v_ashrrev_i32_e32 v51, 31, v88
	v_add_u32_e32 v63, -1, v88
	v_lshrrev_b32_e32 v52, 31, v71
	v_add_u32_e32 v53, v71, v83
	v_add_u32_e32 v55, 0x80, v58
	buffer_load_dwordx4 v[46:49], v99, s[0:3], 0 offen offset:512
	buffer_load_dwordx4 v[42:45], v98, s[0:3], 0 offen offset:512
	v_lshrrev_b32_e32 v54, 31, v58
	v_add_u32_e32 v56, 0x100, v58
	v_add_u32_e32 v57, 0x180, v58
	v_add_u32_e64 v106, 3, s21
	s_waitcnt vmcnt(3)
	ds_write_b128 v50, v[22:25]
	v_lshrrev_b32_e32 v22, 28, v51
	v_ashrrev_i32_e32 v23, 31, v63
	v_add_u32_e32 v24, v71, v52
	v_lshrrev_b32_e32 v25, 31, v53
	v_add_u32_e32 v50, v53, v84
	v_lshrrev_b32_e32 v52, 31, v55
	;; [unrolled: 2-line block ×3, first 2 shown]
	v_lshrrev_b32_e32 v59, 31, v57
	v_sub_u32_e32 v60, v106, v60
	v_add_u32_e32 v22, v88, v22
	v_lshrrev_b32_e32 v23, 28, v23
	v_ashrrev_i32_e32 v64, 1, v24
	v_add_u32_e32 v24, v53, v25
	v_lshrrev_b32_e32 v25, 31, v50
	v_add_u32_e32 v53, v50, v85
	v_add_u32_e32 v52, v55, v52
	v_ashrrev_i32_e32 v51, 1, v51
	v_add_u32_e32 v54, v56, v54
	v_add_u32_e32 v55, v57, v59
	v_mad_u64_u32 v[70:71], s[22:23], v60, s8, v[58:59]
	v_and_b32_e32 v56, -16, v22
	v_add_u32_e32 v57, v63, v23
	v_add_u32_e32 v50, v50, v25
	v_lshrrev_b32_e32 v58, 31, v53
	v_ashrrev_i32_e32 v65, 1, v52
	v_ashrrev_i32_e32 v100, 1, v24
	v_add_u32_e32 v71, v53, v86
	buffer_load_dwordx4 v[22:25], v51, s[12:15], 0 offen
	v_ashrrev_i32_e32 v66, 1, v54
	v_ashrrev_i32_e32 v67, 1, v55
	v_sub_u32_e32 v68, v88, v56
	v_and_b32_e32 v69, -16, v57
	v_ashrrev_i32_e32 v101, 1, v50
	v_add_u32_e32 v102, v53, v58
	buffer_load_dwordx4 v[50:53], v65, s[12:15], 0 offen
	buffer_load_dwordx4 v[54:57], v66, s[12:15], 0 offen
	;; [unrolled: 1-line block ×3, first 2 shown]
	v_xor_b32_e32 v107, v68, v72
	v_sub_u32_e32 v63, v63, v69
	v_sub_u32_e32 v65, v107, v82
	v_xor_b32_e32 v82, v63, v72
	v_lshlrev_b32_e32 v63, 3, v65
	v_add3_u32 v62, v62, v89, v63
	v_lshlrev_b32_e32 v160, 1, v62
	v_ashrrev_i32_e32 v102, 1, v102
	v_sub_u32_e32 v65, v82, v107
	s_waitcnt vmcnt(6)
	ds_write_b128 v160, v[18:21]
	ds_write_b128 v64, v[2:5] offset:4096
	ds_write_b128 v100, v[6:9] offset:4096
	;; [unrolled: 1-line block ×4, first 2 shown]
	s_waitcnt lgkmcnt(0)
	s_barrier
	ds_read_b128 v[108:111], v81 offset:4096
	ds_read_b128 v[14:17], v77
	ds_read_b128 v[10:13], v78
	;; [unrolled: 1-line block ×4, first 2 shown]
	v_lshl_add_u32 v103, v65, 3, v97
	s_waitcnt lgkmcnt(4)
	;;#ASMSTART
	v_and_or_b32 v18, v108, v91, v92
	;;#ASMEND
	;;#ASMSTART
	v_and_or_b32 v19, v108, v93, v92
	;;#ASMEND
	v_add_u32_e32 v161, v103, v62
	v_ashrrev_i32_e32 v20, 8, v108
	;;#ASMSTART
	v_pk_add_f16 v18, v18, v94
	;;#ASMEND
	;;#ASMSTART
	v_pk_fma_f16 v19, v19, v95, v96
	;;#ASMEND
	;;#ASMSTART
	v_and_or_b32 v21, v20, v91, v92
	;;#ASMEND
	;;#ASMSTART
	v_and_or_b32 v62, v20, v93, v92
	;;#ASMEND
	v_ashrrev_i32_e32 v64, 8, v109
	;;#ASMSTART
	v_pk_add_f16 v20, v21, v94
	;;#ASMEND
	;;#ASMSTART
	v_pk_fma_f16 v21, v62, v95, v96
	;;#ASMEND
	;;#ASMSTART
	v_and_or_b32 v62, v109, v91, v92
	;;#ASMEND
	;;#ASMSTART
	v_and_or_b32 v63, v109, v93, v92
	;;#ASMEND
	;; [unrolled: 13-line block ×4, first 2 shown]
	v_add_u32_e32 v104, 0x200, v99
	;;#ASMSTART
	v_pk_add_f16 v66, v66, v94
	;;#ASMEND
	;;#ASMSTART
	v_pk_fma_f16 v67, v67, v95, v96
	;;#ASMEND
	;;#ASMSTART
	v_and_or_b32 v69, v68, v91, v92
	;;#ASMEND
	;;#ASMSTART
	v_and_or_b32 v108, v68, v93, v92
	;;#ASMEND
	v_add_u32_e32 v105, 0x200, v98
	;;#ASMSTART
	v_pk_add_f16 v68, v69, v94
	;;#ASMEND
	;;#ASMSTART
	v_pk_fma_f16 v69, v108, v95, v96
	;;#ASMEND
	;;#ASMSTART
	v_and_or_b32 v108, v111, v91, v92
	;;#ASMEND
	;;#ASMSTART
	v_and_or_b32 v109, v111, v93, v92
	;;#ASMEND
	s_nop 0
	;;#ASMSTART
	v_pk_add_f16 v108, v108, v94
	;;#ASMEND
	;;#ASMSTART
	v_pk_fma_f16 v109, v109, v95, v96
	;;#ASMEND
	;;#ASMSTART
	v_and_or_b32 v110, v112, v91, v92
	;;#ASMEND
	;;#ASMSTART
	v_and_or_b32 v111, v112, v93, v92
	;;#ASMEND
	s_nop 0
	;;#ASMSTART
	v_pk_add_f16 v110, v110, v94
	;;#ASMEND
	;;#ASMSTART
	v_pk_fma_f16 v111, v111, v95, v96
	;;#ASMEND
	ds_read_b128 v[112:115], v76 offset:4096
	s_waitcnt lgkmcnt(0)
	;;#ASMSTART
	v_and_or_b32 v116, v112, v91, v92
	;;#ASMEND
	;;#ASMSTART
	v_and_or_b32 v117, v112, v93, v92
	;;#ASMEND
	v_ashrrev_i32_e32 v112, 8, v112
	;;#ASMSTART
	v_pk_add_f16 v116, v116, v94
	;;#ASMEND
	;;#ASMSTART
	v_pk_fma_f16 v117, v117, v95, v96
	;;#ASMEND
	;;#ASMSTART
	v_and_or_b32 v118, v112, v91, v92
	;;#ASMEND
	;;#ASMSTART
	v_and_or_b32 v112, v112, v93, v92
	;;#ASMEND
	v_ashrrev_i32_e32 v122, 8, v113
	;;#ASMSTART
	v_pk_add_f16 v118, v118, v94
	;;#ASMEND
	;;#ASMSTART
	v_pk_fma_f16 v119, v112, v95, v96
	;;#ASMEND
	;; [unrolled: 13-line block ×4, first 2 shown]
	;;#ASMSTART
	v_and_or_b32 v112, v114, v91, v92
	;;#ASMEND
	;;#ASMSTART
	v_and_or_b32 v113, v114, v93, v92
	;;#ASMEND
	s_nop 0
	;;#ASMSTART
	v_pk_add_f16 v124, v112, v94
	;;#ASMEND
	;;#ASMSTART
	v_pk_fma_f16 v125, v113, v95, v96
	;;#ASMEND
	;;#ASMSTART
	v_and_or_b32 v112, v126, v91, v92
	;;#ASMEND
	;;#ASMSTART
	v_and_or_b32 v113, v126, v93, v92
	;;#ASMEND
	s_nop 0
	;;#ASMSTART
	v_pk_add_f16 v126, v112, v94
	;;#ASMEND
	;;#ASMSTART
	v_pk_fma_f16 v127, v113, v95, v96
	;;#ASMEND
	;; [unrolled: 13-line block ×4, first 2 shown]
	ds_read_b128 v[128:131], v75 offset:4096
	s_waitcnt lgkmcnt(0)
	;;#ASMSTART
	v_and_or_b32 v132, v128, v91, v92
	;;#ASMEND
	;;#ASMSTART
	v_and_or_b32 v133, v128, v93, v92
	;;#ASMEND
	v_ashrrev_i32_e32 v128, 8, v128
	;;#ASMSTART
	v_pk_add_f16 v132, v132, v94
	;;#ASMEND
	;;#ASMSTART
	v_pk_fma_f16 v133, v133, v95, v96
	;;#ASMEND
	;;#ASMSTART
	v_and_or_b32 v134, v128, v91, v92
	;;#ASMEND
	;;#ASMSTART
	v_and_or_b32 v128, v128, v93, v92
	;;#ASMEND
	v_ashrrev_i32_e32 v138, 8, v129
	;;#ASMSTART
	v_pk_add_f16 v134, v134, v94
	;;#ASMEND
	;;#ASMSTART
	v_pk_fma_f16 v135, v128, v95, v96
	;;#ASMEND
	;; [unrolled: 13-line block ×4, first 2 shown]
	;;#ASMSTART
	v_and_or_b32 v128, v130, v91, v92
	;;#ASMEND
	;;#ASMSTART
	v_and_or_b32 v129, v130, v93, v92
	;;#ASMEND
	s_nop 0
	;;#ASMSTART
	v_pk_add_f16 v140, v128, v94
	;;#ASMEND
	;;#ASMSTART
	v_pk_fma_f16 v141, v129, v95, v96
	;;#ASMEND
	;;#ASMSTART
	v_and_or_b32 v128, v142, v91, v92
	;;#ASMEND
	;;#ASMSTART
	v_and_or_b32 v129, v142, v93, v92
	;;#ASMEND
	s_nop 0
	;;#ASMSTART
	v_pk_add_f16 v142, v128, v94
	;;#ASMEND
	;;#ASMSTART
	v_pk_fma_f16 v143, v129, v95, v96
	;;#ASMEND
	;; [unrolled: 13-line block ×4, first 2 shown]
	ds_read_b128 v[144:147], v74 offset:4096
	s_waitcnt lgkmcnt(0)
	;;#ASMSTART
	v_and_or_b32 v148, v144, v91, v92
	;;#ASMEND
	;;#ASMSTART
	v_and_or_b32 v149, v144, v93, v92
	;;#ASMEND
	v_ashrrev_i32_e32 v144, 8, v144
	;;#ASMSTART
	v_pk_add_f16 v148, v148, v94
	;;#ASMEND
	;;#ASMSTART
	v_pk_fma_f16 v149, v149, v95, v96
	;;#ASMEND
	;;#ASMSTART
	v_and_or_b32 v150, v144, v91, v92
	;;#ASMEND
	;;#ASMSTART
	v_and_or_b32 v144, v144, v93, v92
	;;#ASMEND
	v_ashrrev_i32_e32 v154, 8, v145
	;;#ASMSTART
	v_pk_add_f16 v150, v150, v94
	;;#ASMEND
	;;#ASMSTART
	v_pk_fma_f16 v151, v144, v95, v96
	;;#ASMEND
	;; [unrolled: 13-line block ×4, first 2 shown]
	;;#ASMSTART
	v_and_or_b32 v144, v146, v91, v92
	;;#ASMEND
	;;#ASMSTART
	v_and_or_b32 v145, v146, v93, v92
	;;#ASMEND
	s_nop 0
	;;#ASMSTART
	v_pk_add_f16 v156, v144, v94
	;;#ASMEND
	;;#ASMSTART
	v_pk_fma_f16 v157, v145, v95, v96
	;;#ASMEND
	;;#ASMSTART
	v_and_or_b32 v144, v158, v91, v92
	;;#ASMEND
	;;#ASMSTART
	v_and_or_b32 v145, v158, v93, v92
	;;#ASMEND
	s_nop 0
	;;#ASMSTART
	v_pk_add_f16 v158, v144, v94
	;;#ASMEND
	;;#ASMSTART
	v_pk_fma_f16 v159, v145, v95, v96
	;;#ASMEND
	;; [unrolled: 13-line block ×4, first 2 shown]
	; sched_barrier mask(0x00000000)
	s_barrier
	; sched_barrier mask(0x00000000)
	v_mfma_f32_16x16x32_f16 v[18:21], v[14:17], v[18:21], v[38:41]
	v_mfma_f32_16x16x32_f16 v[18:21], v[10:13], v[62:65], v[18:21]
	;; [unrolled: 1-line block ×4, first 2 shown]
	; sched_barrier mask(0x00000000)
	s_setprio 1
	; sched_barrier mask(0x00000000)
	v_mfma_f32_16x16x32_f16 v[18:21], v[14:17], v[116:119], v[34:37]
	v_mfma_f32_16x16x32_f16 v[18:21], v[10:13], v[120:123], v[18:21]
	;; [unrolled: 1-line block ×8, first 2 shown]
	; sched_barrier mask(0x00000000)
	s_waitcnt lgkmcnt(0)
	s_barrier
	; sched_barrier mask(0x00000000)
	v_mfma_f32_16x16x32_f16 v[14:17], v[14:17], v[148:151], v[26:29]
	v_mfma_f32_16x16x32_f16 v[10:13], v[10:13], v[152:155], v[14:17]
	;; [unrolled: 1-line block ×4, first 2 shown]
	; sched_barrier mask(0x00000000)
	s_setprio 0
	; sched_barrier mask(0x00000000)
	v_sub_u32_e32 v3, v107, v82
	v_lshlrev_b32_e32 v107, 3, v3
	v_lshl_add_u32 v2, v103, 1, v160
	v_add_u32_e32 v3, 0x80, v107
	s_waitcnt vmcnt(5)
	ds_write_b128 v2, v[46:49]
	v_lshl_add_u32 v108, v3, 1, v2
	v_lshrrev_b32_e32 v2, 31, v71
	v_add_u32_e32 v2, v71, v2
	v_add_u32_e32 v6, 0x80, v70
	;; [unrolled: 1-line block ×4, first 2 shown]
	v_ashrrev_i32_e32 v109, 1, v2
	v_lshrrev_b32_e32 v2, 31, v70
	v_lshrrev_b32_e32 v7, 31, v6
	;; [unrolled: 1-line block ×4, first 2 shown]
	v_add_u32_e32 v2, v70, v2
	v_add_u32_e32 v6, v6, v7
	;; [unrolled: 1-line block ×4, first 2 shown]
	s_waitcnt vmcnt(4)
	ds_write_b128 v108, v[42:45]
	s_waitcnt vmcnt(3)
	ds_write_b128 v109, v[22:25] offset:4096
	s_waitcnt vmcnt(2)
	ds_write_b128 v100, v[50:53] offset:4096
	;; [unrolled: 2-line block ×4, first 2 shown]
	v_ashrrev_i32_e32 v2, 1, v2
	v_ashrrev_i32_e32 v6, 1, v6
	;; [unrolled: 1-line block ×4, first 2 shown]
	v_add3_u32 v62, v161, v3, v103
	buffer_load_dwordx4 v[22:25], v99, s[0:3], 0 offen offset:768
	buffer_load_dwordx4 v[18:21], v98, s[0:3], 0 offen offset:768
	v_add_u32_e64 v42, 4, s21
	buffer_load_dwordx4 v[2:5], v2, s[12:15], 0 offen
	v_add_u32_e32 v87, 8, v87
	buffer_load_dwordx4 v[6:9], v6, s[12:15], 0 offen
	v_sub_u32_e32 v42, v42, v106
	buffer_load_dwordx4 v[10:13], v10, s[12:15], 0 offen
	s_add_i32 s21, s21, 2
	buffer_load_dwordx4 v[14:17], v14, s[12:15], 0 offen
	v_lshrrev_b32_e32 v60, 2, v87
	v_mad_u64_u32 v[58:59], s[22:23], v42, s8, v[70:71]
	v_add_u32_e32 v88, v88, v90
	s_cmp_lt_i32 s21, s10
	v_mov_b32_e32 v99, v104
	v_mov_b32_e32 v98, v105
	s_cbranch_scc1 .LBB2_12
; %bb.13:
	s_waitcnt lgkmcnt(0)
	s_barrier
	ds_read_b128 v[54:57], v77
	ds_read_b128 v[50:53], v78
	ds_read_b128 v[82:85], v81 offset:4096
	ds_read_b128 v[46:49], v79
	ds_read_b128 v[42:45], v80
	v_mov_b32_e32 v66, 0xf000f
	v_mov_b32_e32 v67, 0x64006400
	s_waitcnt lgkmcnt(2)
	;;#ASMSTART
	v_and_or_b32 v58, v82, v66, v67
	;;#ASMEND
	v_mov_b32_e32 v68, 0xf000f0
	;;#ASMSTART
	v_and_or_b32 v59, v82, v68, v67
	;;#ASMEND
	v_mov_b32_e32 v69, 0xe408e408
	;;#ASMSTART
	v_pk_add_f16 v58, v58, v69
	;;#ASMEND
	v_mov_b32_e32 v70, 0x2c002c00
	v_mov_b32_e32 v71, 0xd480d480
	;;#ASMSTART
	v_pk_fma_f16 v59, v59, v70, v71
	;;#ASMEND
	v_ashrrev_i32_e32 v60, 8, v82
	;;#ASMSTART
	v_and_or_b32 v61, v60, v66, v67
	;;#ASMEND
	;;#ASMSTART
	v_and_or_b32 v62, v60, v68, v67
	;;#ASMEND
	v_ashrrev_i32_e32 v64, 8, v83
	;;#ASMSTART
	v_pk_add_f16 v60, v61, v69
	;;#ASMEND
	;;#ASMSTART
	v_pk_fma_f16 v61, v62, v70, v71
	;;#ASMEND
	;;#ASMSTART
	v_and_or_b32 v62, v83, v66, v67
	;;#ASMEND
	;;#ASMSTART
	v_and_or_b32 v63, v83, v68, v67
	;;#ASMEND
	s_lshl_b64 s[0:1], s[18:19], 1
	;;#ASMSTART
	v_pk_add_f16 v62, v62, v69
	;;#ASMEND
	;;#ASMSTART
	v_pk_fma_f16 v63, v63, v70, v71
	;;#ASMEND
	;;#ASMSTART
	v_and_or_b32 v65, v64, v66, v67
	;;#ASMEND
	;;#ASMSTART
	v_and_or_b32 v82, v64, v68, v67
	;;#ASMEND
	s_add_u32 s12, s16, s0
	;;#ASMSTART
	v_pk_add_f16 v64, v65, v69
	;;#ASMEND
	;;#ASMSTART
	v_pk_fma_f16 v65, v82, v70, v71
	;;#ASMEND
	;;#ASMSTART
	v_and_or_b32 v82, v84, v66, v67
	;;#ASMEND
	;;#ASMSTART
	v_and_or_b32 v83, v84, v68, v67
	;;#ASMEND
	s_mul_i32 s0, s20, s9
	;;#ASMSTART
	v_pk_add_f16 v86, v82, v69
	;;#ASMEND
	v_ashrrev_i32_e32 v82, 8, v84
	;;#ASMSTART
	v_pk_fma_f16 v87, v83, v70, v71
	;;#ASMEND
	;;#ASMSTART
	v_and_or_b32 v83, v82, v66, v67
	;;#ASMEND
	;;#ASMSTART
	v_and_or_b32 v82, v82, v68, v67
	;;#ASMEND
	v_ashrrev_i32_e32 v84, 8, v85
	;;#ASMSTART
	v_pk_add_f16 v88, v83, v69
	;;#ASMEND
	;;#ASMSTART
	v_pk_fma_f16 v89, v82, v70, v71
	;;#ASMEND
	;;#ASMSTART
	v_and_or_b32 v82, v85, v66, v67
	;;#ASMEND
	;;#ASMSTART
	v_and_or_b32 v83, v85, v68, v67
	;;#ASMEND
	s_mul_hi_u32 s2, 0, s9
	;;#ASMSTART
	v_pk_add_f16 v82, v82, v69
	;;#ASMEND
	;;#ASMSTART
	v_pk_fma_f16 v83, v83, v70, v71
	;;#ASMEND
	;;#ASMSTART
	v_and_or_b32 v85, v84, v66, v67
	;;#ASMEND
	;;#ASMSTART
	v_and_or_b32 v90, v84, v68, v67
	;;#ASMEND
	s_addc_u32 s13, s17, s1
	;;#ASMSTART
	v_pk_add_f16 v84, v85, v69
	;;#ASMEND
	;;#ASMSTART
	v_pk_fma_f16 v85, v90, v70, v71
	;;#ASMEND
	ds_read_b128 v[90:93], v76 offset:4096
	s_waitcnt lgkmcnt(0)
	;;#ASMSTART
	v_and_or_b32 v94, v90, v66, v67
	;;#ASMEND
	;;#ASMSTART
	v_and_or_b32 v95, v90, v68, v67
	;;#ASMEND
	s_add_i32 s2, s2, s0
	;;#ASMSTART
	v_pk_add_f16 v94, v94, v69
	;;#ASMEND
	v_ashrrev_i32_e32 v90, 8, v90
	;;#ASMSTART
	v_pk_fma_f16 v95, v95, v70, v71
	;;#ASMEND
	;;#ASMSTART
	v_and_or_b32 v96, v90, v66, v67
	;;#ASMEND
	;;#ASMSTART
	v_and_or_b32 v90, v90, v68, v67
	;;#ASMEND
	s_nop 0
	;;#ASMSTART
	v_pk_add_f16 v96, v96, v69
	;;#ASMEND
	;;#ASMSTART
	v_pk_fma_f16 v97, v90, v70, v71
	;;#ASMEND
	;;#ASMSTART
	v_and_or_b32 v90, v91, v66, v67
	;;#ASMEND
	;;#ASMSTART
	v_and_or_b32 v98, v91, v68, v67
	;;#ASMEND
	s_nop 0
	;;#ASMSTART
	v_pk_add_f16 v110, v90, v69
	;;#ASMEND
	v_ashrrev_i32_e32 v90, 8, v91
	;;#ASMSTART
	v_pk_fma_f16 v111, v98, v70, v71
	;;#ASMEND
	;;#ASMSTART
	v_and_or_b32 v91, v90, v66, v67
	;;#ASMEND
	;;#ASMSTART
	v_and_or_b32 v90, v90, v68, v67
	;;#ASMEND
	s_nop 0
	;;#ASMSTART
	v_pk_add_f16 v112, v91, v69
	;;#ASMEND
	;;#ASMSTART
	v_pk_fma_f16 v113, v90, v70, v71
	;;#ASMEND
	;;#ASMSTART
	v_and_or_b32 v90, v92, v66, v67
	;;#ASMEND
	;;#ASMSTART
	v_and_or_b32 v91, v92, v68, v67
	;;#ASMEND
	s_nop 0
	;;#ASMSTART
	v_pk_add_f16 v114, v90, v69
	;;#ASMEND
	v_ashrrev_i32_e32 v90, 8, v92
	;;#ASMSTART
	v_pk_fma_f16 v115, v91, v70, v71
	;;#ASMEND
	;;#ASMSTART
	v_and_or_b32 v91, v90, v66, v67
	;;#ASMEND
	;;#ASMSTART
	v_and_or_b32 v90, v90, v68, v67
	;;#ASMEND
	v_ashrrev_i32_e32 v92, 8, v93
	;;#ASMSTART
	v_pk_add_f16 v116, v91, v69
	;;#ASMEND
	;;#ASMSTART
	v_pk_fma_f16 v117, v90, v70, v71
	;;#ASMEND
	;;#ASMSTART
	v_and_or_b32 v90, v93, v66, v67
	;;#ASMEND
	;;#ASMSTART
	v_and_or_b32 v91, v93, v68, v67
	;;#ASMEND
	s_nop 0
	;;#ASMSTART
	v_pk_add_f16 v90, v90, v69
	;;#ASMEND
	;;#ASMSTART
	v_pk_fma_f16 v91, v91, v70, v71
	;;#ASMEND
	;;#ASMSTART
	v_and_or_b32 v93, v92, v66, v67
	;;#ASMEND
	;;#ASMSTART
	v_and_or_b32 v98, v92, v68, v67
	;;#ASMEND
	s_nop 0
	;;#ASMSTART
	v_pk_add_f16 v92, v93, v69
	;;#ASMEND
	;;#ASMSTART
	v_pk_fma_f16 v93, v98, v70, v71
	;;#ASMEND
	ds_read_b128 v[118:121], v75 offset:4096
	s_waitcnt lgkmcnt(0)
	;;#ASMSTART
	v_and_or_b32 v98, v118, v66, v67
	;;#ASMEND
	;;#ASMSTART
	v_and_or_b32 v99, v118, v68, v67
	;;#ASMEND
	s_nop 0
	;;#ASMSTART
	v_pk_add_f16 v122, v98, v69
	;;#ASMEND
	v_ashrrev_i32_e32 v98, 8, v118
	;;#ASMSTART
	v_pk_fma_f16 v123, v99, v70, v71
	;;#ASMEND
	;;#ASMSTART
	v_and_or_b32 v99, v98, v66, v67
	;;#ASMEND
	;;#ASMSTART
	v_and_or_b32 v98, v98, v68, v67
	;;#ASMEND
	s_nop 0
	;;#ASMSTART
	v_pk_add_f16 v124, v99, v69
	;;#ASMEND
	;;#ASMSTART
	v_pk_fma_f16 v125, v98, v70, v71
	;;#ASMEND
	;;#ASMSTART
	v_and_or_b32 v98, v119, v66, v67
	;;#ASMEND
	;;#ASMSTART
	v_and_or_b32 v99, v119, v68, v67
	;;#ASMEND
	s_nop 0
	;;#ASMSTART
	v_pk_add_f16 v126, v98, v69
	;;#ASMEND
	v_ashrrev_i32_e32 v98, 8, v119
	;;#ASMSTART
	v_pk_fma_f16 v127, v99, v70, v71
	;;#ASMEND
	;;#ASMSTART
	v_and_or_b32 v99, v98, v66, v67
	;;#ASMEND
	;;#ASMSTART
	v_and_or_b32 v98, v98, v68, v67
	;;#ASMEND
	s_nop 0
	;;#ASMSTART
	v_pk_add_f16 v128, v99, v69
	;;#ASMEND
	;;#ASMSTART
	v_pk_fma_f16 v129, v98, v70, v71
	;;#ASMEND
	;; [unrolled: 27-line block ×4, first 2 shown]
	ds_read_b128 v[134:137], v74 offset:4096
	s_waitcnt lgkmcnt(0)
	;;#ASMSTART
	v_and_or_b32 v98, v134, v66, v67
	;;#ASMEND
	;;#ASMSTART
	v_and_or_b32 v99, v134, v68, v67
	;;#ASMEND
	s_nop 0
	;;#ASMSTART
	v_pk_add_f16 v138, v98, v69
	;;#ASMEND
	v_ashrrev_i32_e32 v98, 8, v134
	;;#ASMSTART
	v_pk_fma_f16 v139, v99, v70, v71
	;;#ASMEND
	;;#ASMSTART
	v_and_or_b32 v99, v98, v66, v67
	;;#ASMEND
	;;#ASMSTART
	v_and_or_b32 v98, v98, v68, v67
	;;#ASMEND
	s_nop 0
	;;#ASMSTART
	v_pk_add_f16 v140, v99, v69
	;;#ASMEND
	;;#ASMSTART
	v_pk_fma_f16 v141, v98, v70, v71
	;;#ASMEND
	;;#ASMSTART
	v_and_or_b32 v98, v135, v66, v67
	;;#ASMEND
	;;#ASMSTART
	v_and_or_b32 v99, v135, v68, v67
	;;#ASMEND
	s_nop 0
	;;#ASMSTART
	v_pk_add_f16 v142, v98, v69
	;;#ASMEND
	v_ashrrev_i32_e32 v98, 8, v135
	;;#ASMSTART
	v_pk_fma_f16 v143, v99, v70, v71
	;;#ASMEND
	;;#ASMSTART
	v_and_or_b32 v99, v98, v66, v67
	;;#ASMEND
	;;#ASMSTART
	v_and_or_b32 v98, v98, v68, v67
	;;#ASMEND
	s_nop 0
	;;#ASMSTART
	v_pk_add_f16 v144, v99, v69
	;;#ASMEND
	;;#ASMSTART
	v_pk_fma_f16 v145, v98, v70, v71
	;;#ASMEND
	;; [unrolled: 27-line block ×4, first 2 shown]
	; sched_barrier mask(0x00000000)
	s_barrier
	; sched_barrier mask(0x00000000)
	v_mfma_f32_16x16x32_f16 v[38:41], v[54:57], v[58:61], v[38:41]
	v_mfma_f32_16x16x32_f16 v[38:41], v[50:53], v[62:65], v[38:41]
	;; [unrolled: 1-line block ×4, first 2 shown]
	; sched_barrier mask(0x00000000)
	s_setprio 1
	; sched_barrier mask(0x00000000)
	v_mfma_f32_16x16x32_f16 v[34:37], v[54:57], v[94:97], v[34:37]
	v_mfma_f32_16x16x32_f16 v[30:33], v[54:57], v[122:125], v[30:33]
	;; [unrolled: 1-line block ×8, first 2 shown]
	; sched_barrier mask(0x00000000)
	s_waitcnt lgkmcnt(0)
	s_barrier
	; sched_barrier mask(0x00000000)
	v_mfma_f32_16x16x32_f16 v[26:29], v[54:57], v[138:141], v[26:29]
	v_mfma_f32_16x16x32_f16 v[26:29], v[50:53], v[142:145], v[26:29]
	;; [unrolled: 1-line block ×4, first 2 shown]
	; sched_barrier mask(0x00000000)
	s_setprio 0
	; sched_barrier mask(0x00000000)
	v_lshl_add_u32 v42, v103, 1, v108
	s_waitcnt vmcnt(5)
	ds_write_b128 v42, v[22:25]
	v_lshl_add_u32 v22, v107, 1, v42
	s_waitcnt vmcnt(4)
	ds_write_b128 v22, v[18:21] offset:256
	s_waitcnt vmcnt(3)
	ds_write_b128 v109, v[2:5] offset:4096
	;; [unrolled: 2-line block ×5, first 2 shown]
	s_waitcnt lgkmcnt(0)
	s_barrier
	ds_read_b128 v[22:25], v81 offset:4096
	ds_read_b128 v[14:17], v77
	ds_read_b128 v[10:13], v78
	;; [unrolled: 1-line block ×4, first 2 shown]
	s_waitcnt lgkmcnt(4)
	;;#ASMSTART
	v_and_or_b32 v18, v22, v66, v67
	;;#ASMEND
	;;#ASMSTART
	v_and_or_b32 v19, v22, v68, v67
	;;#ASMEND
	v_ashrrev_i32_e32 v20, 8, v22
	;;#ASMSTART
	v_pk_add_f16 v18, v18, v69
	;;#ASMEND
	;;#ASMSTART
	v_pk_fma_f16 v19, v19, v70, v71
	;;#ASMEND
	;;#ASMSTART
	v_and_or_b32 v21, v20, v66, v67
	;;#ASMEND
	;;#ASMSTART
	v_and_or_b32 v22, v20, v68, v67
	;;#ASMEND
	s_nop 0
	;;#ASMSTART
	v_pk_add_f16 v20, v21, v69
	;;#ASMEND
	;;#ASMSTART
	v_pk_fma_f16 v21, v22, v70, v71
	;;#ASMEND
	;;#ASMSTART
	v_and_or_b32 v22, v23, v66, v67
	;;#ASMEND
	;;#ASMSTART
	v_and_or_b32 v43, v23, v68, v67
	;;#ASMEND
	s_nop 0
	;;#ASMSTART
	v_pk_add_f16 v42, v22, v69
	;;#ASMEND
	v_ashrrev_i32_e32 v22, 8, v23
	;;#ASMSTART
	v_pk_fma_f16 v43, v43, v70, v71
	;;#ASMEND
	;;#ASMSTART
	v_and_or_b32 v23, v22, v66, v67
	;;#ASMEND
	;;#ASMSTART
	v_and_or_b32 v22, v22, v68, v67
	;;#ASMEND
	s_nop 0
	;;#ASMSTART
	v_pk_add_f16 v44, v23, v69
	;;#ASMEND
	;;#ASMSTART
	v_pk_fma_f16 v45, v22, v70, v71
	;;#ASMEND
	;;#ASMSTART
	v_and_or_b32 v22, v24, v66, v67
	;;#ASMEND
	;;#ASMSTART
	v_and_or_b32 v23, v24, v68, v67
	;;#ASMEND
	s_nop 0
	;;#ASMSTART
	v_pk_add_f16 v46, v22, v69
	;;#ASMEND
	v_ashrrev_i32_e32 v22, 8, v24
	;;#ASMSTART
	v_pk_fma_f16 v47, v23, v70, v71
	;;#ASMEND
	;;#ASMSTART
	v_and_or_b32 v23, v22, v66, v67
	;;#ASMEND
	;;#ASMSTART
	v_and_or_b32 v22, v22, v68, v67
	;;#ASMEND
	v_ashrrev_i32_e32 v24, 8, v25
	;;#ASMSTART
	v_pk_add_f16 v48, v23, v69
	;;#ASMEND
	;;#ASMSTART
	v_pk_fma_f16 v49, v22, v70, v71
	;;#ASMEND
	;;#ASMSTART
	v_and_or_b32 v22, v25, v66, v67
	;;#ASMEND
	;;#ASMSTART
	v_and_or_b32 v23, v25, v68, v67
	;;#ASMEND
	s_nop 0
	;;#ASMSTART
	v_pk_add_f16 v22, v22, v69
	;;#ASMEND
	;;#ASMSTART
	v_pk_fma_f16 v23, v23, v70, v71
	;;#ASMEND
	;;#ASMSTART
	v_and_or_b32 v25, v24, v66, v67
	;;#ASMEND
	;;#ASMSTART
	v_and_or_b32 v50, v24, v68, v67
	;;#ASMEND
	s_nop 0
	;;#ASMSTART
	v_pk_add_f16 v24, v25, v69
	;;#ASMEND
	;;#ASMSTART
	v_pk_fma_f16 v25, v50, v70, v71
	;;#ASMEND
	ds_read_b128 v[50:53], v76 offset:4096
	s_waitcnt lgkmcnt(0)
	;;#ASMSTART
	v_and_or_b32 v54, v50, v66, v67
	;;#ASMEND
	;;#ASMSTART
	v_and_or_b32 v55, v50, v68, v67
	;;#ASMEND
	v_ashrrev_i32_e32 v50, 8, v50
	;;#ASMSTART
	v_pk_add_f16 v54, v54, v69
	;;#ASMEND
	;;#ASMSTART
	v_pk_fma_f16 v55, v55, v70, v71
	;;#ASMEND
	;;#ASMSTART
	v_and_or_b32 v56, v50, v66, v67
	;;#ASMEND
	;;#ASMSTART
	v_and_or_b32 v50, v50, v68, v67
	;;#ASMEND
	s_nop 0
	;;#ASMSTART
	v_pk_add_f16 v56, v56, v69
	;;#ASMEND
	;;#ASMSTART
	v_pk_fma_f16 v57, v50, v70, v71
	;;#ASMEND
	;;#ASMSTART
	v_and_or_b32 v50, v51, v66, v67
	;;#ASMEND
	;;#ASMSTART
	v_and_or_b32 v59, v51, v68, v67
	;;#ASMEND
	s_nop 0
	;;#ASMSTART
	v_pk_add_f16 v58, v50, v69
	;;#ASMEND
	v_ashrrev_i32_e32 v50, 8, v51
	;;#ASMSTART
	v_pk_fma_f16 v59, v59, v70, v71
	;;#ASMEND
	;;#ASMSTART
	v_and_or_b32 v51, v50, v66, v67
	;;#ASMEND
	;;#ASMSTART
	v_and_or_b32 v50, v50, v68, v67
	;;#ASMEND
	s_nop 0
	;;#ASMSTART
	v_pk_add_f16 v60, v51, v69
	;;#ASMEND
	;;#ASMSTART
	v_pk_fma_f16 v61, v50, v70, v71
	;;#ASMEND
	;;#ASMSTART
	v_and_or_b32 v50, v52, v66, v67
	;;#ASMEND
	;;#ASMSTART
	v_and_or_b32 v51, v52, v68, v67
	;;#ASMEND
	s_nop 0
	;;#ASMSTART
	v_pk_add_f16 v62, v50, v69
	;;#ASMEND
	v_ashrrev_i32_e32 v50, 8, v52
	;;#ASMSTART
	v_pk_fma_f16 v63, v51, v70, v71
	;;#ASMEND
	;;#ASMSTART
	v_and_or_b32 v51, v50, v66, v67
	;;#ASMEND
	;;#ASMSTART
	v_and_or_b32 v50, v50, v68, v67
	;;#ASMEND
	v_ashrrev_i32_e32 v52, 8, v53
	;;#ASMSTART
	v_pk_add_f16 v64, v51, v69
	;;#ASMEND
	;;#ASMSTART
	v_pk_fma_f16 v65, v50, v70, v71
	;;#ASMEND
	;;#ASMSTART
	v_and_or_b32 v50, v53, v66, v67
	;;#ASMEND
	;;#ASMSTART
	v_and_or_b32 v51, v53, v68, v67
	;;#ASMEND
	s_nop 0
	;;#ASMSTART
	v_pk_add_f16 v50, v50, v69
	;;#ASMEND
	;;#ASMSTART
	v_pk_fma_f16 v51, v51, v70, v71
	;;#ASMEND
	;;#ASMSTART
	v_and_or_b32 v53, v52, v66, v67
	;;#ASMEND
	;;#ASMSTART
	v_and_or_b32 v76, v52, v68, v67
	;;#ASMEND
	s_nop 0
	;;#ASMSTART
	v_pk_add_f16 v52, v53, v69
	;;#ASMEND
	;;#ASMSTART
	v_pk_fma_f16 v53, v76, v70, v71
	;;#ASMEND
	ds_read_b128 v[76:79], v75 offset:4096
	s_waitcnt lgkmcnt(0)
	;;#ASMSTART
	v_and_or_b32 v75, v76, v66, v67
	;;#ASMEND
	;;#ASMSTART
	v_and_or_b32 v81, v76, v68, v67
	;;#ASMEND
	s_nop 0
	;;#ASMSTART
	v_pk_add_f16 v80, v75, v69
	;;#ASMEND
	v_ashrrev_i32_e32 v75, 8, v76
	;;#ASMSTART
	v_pk_fma_f16 v81, v81, v70, v71
	;;#ASMEND
	;;#ASMSTART
	v_and_or_b32 v76, v75, v66, v67
	;;#ASMEND
	;;#ASMSTART
	v_and_or_b32 v75, v75, v68, v67
	;;#ASMEND
	s_nop 0
	;;#ASMSTART
	v_pk_add_f16 v82, v76, v69
	;;#ASMEND
	;;#ASMSTART
	v_pk_fma_f16 v83, v75, v70, v71
	;;#ASMEND
	;;#ASMSTART
	v_and_or_b32 v75, v77, v66, v67
	;;#ASMEND
	;;#ASMSTART
	v_and_or_b32 v76, v77, v68, v67
	;;#ASMEND
	s_nop 0
	;;#ASMSTART
	v_pk_add_f16 v84, v75, v69
	;;#ASMEND
	v_ashrrev_i32_e32 v75, 8, v77
	;;#ASMSTART
	v_pk_fma_f16 v85, v76, v70, v71
	;;#ASMEND
	;;#ASMSTART
	v_and_or_b32 v76, v75, v66, v67
	;;#ASMEND
	;;#ASMSTART
	v_and_or_b32 v75, v75, v68, v67
	;;#ASMEND
	s_nop 0
	;;#ASMSTART
	v_pk_add_f16 v86, v76, v69
	;;#ASMEND
	;;#ASMSTART
	v_pk_fma_f16 v87, v75, v70, v71
	;;#ASMEND
	;; [unrolled: 27-line block ×3, first 2 shown]
	;;#ASMSTART
	v_and_or_b32 v75, v79, v66, v67
	;;#ASMEND
	;;#ASMSTART
	v_and_or_b32 v77, v79, v68, v67
	;;#ASMEND
	s_nop 0
	;;#ASMSTART
	v_pk_add_f16 v76, v75, v69
	;;#ASMEND
	;;#ASMSTART
	v_pk_fma_f16 v77, v77, v70, v71
	;;#ASMEND
	v_ashrrev_i32_e32 v75, 8, v79
	;;#ASMSTART
	v_and_or_b32 v78, v75, v66, v67
	;;#ASMEND
	;;#ASMSTART
	v_and_or_b32 v75, v75, v68, v67
	;;#ASMEND
	s_nop 0
	;;#ASMSTART
	v_pk_add_f16 v78, v78, v69
	;;#ASMEND
	;;#ASMSTART
	v_pk_fma_f16 v79, v75, v70, v71
	;;#ASMEND
	ds_read_b128 v[92:95], v74 offset:4096
	s_waitcnt lgkmcnt(0)
	;;#ASMSTART
	v_and_or_b32 v74, v92, v66, v67
	;;#ASMEND
	;;#ASMSTART
	v_and_or_b32 v75, v92, v68, v67
	;;#ASMEND
	s_nop 0
	;;#ASMSTART
	v_pk_add_f16 v96, v74, v69
	;;#ASMEND
	v_ashrrev_i32_e32 v74, 8, v92
	;;#ASMSTART
	v_pk_fma_f16 v97, v75, v70, v71
	;;#ASMEND
	;;#ASMSTART
	v_and_or_b32 v75, v74, v66, v67
	;;#ASMEND
	;;#ASMSTART
	v_and_or_b32 v74, v74, v68, v67
	;;#ASMEND
	s_nop 0
	;;#ASMSTART
	v_pk_add_f16 v98, v75, v69
	;;#ASMEND
	;;#ASMSTART
	v_pk_fma_f16 v99, v74, v70, v71
	;;#ASMEND
	;;#ASMSTART
	v_and_or_b32 v74, v93, v66, v67
	;;#ASMEND
	;;#ASMSTART
	v_and_or_b32 v75, v93, v68, v67
	;;#ASMEND
	s_nop 0
	;;#ASMSTART
	v_pk_add_f16 v100, v74, v69
	;;#ASMEND
	v_ashrrev_i32_e32 v74, 8, v93
	;;#ASMSTART
	v_pk_fma_f16 v101, v75, v70, v71
	;;#ASMEND
	;;#ASMSTART
	v_and_or_b32 v75, v74, v66, v67
	;;#ASMEND
	;;#ASMSTART
	v_and_or_b32 v74, v74, v68, v67
	;;#ASMEND
	s_nop 0
	;;#ASMSTART
	v_pk_add_f16 v102, v75, v69
	;;#ASMEND
	;;#ASMSTART
	v_pk_fma_f16 v103, v74, v70, v71
	;;#ASMEND
	;; [unrolled: 27-line block ×3, first 2 shown]
	;;#ASMSTART
	v_and_or_b32 v74, v95, v66, v67
	;;#ASMEND
	;;#ASMSTART
	v_and_or_b32 v75, v95, v68, v67
	;;#ASMEND
	s_nop 0
	;;#ASMSTART
	v_pk_add_f16 v92, v74, v69
	;;#ASMEND
	;;#ASMSTART
	v_pk_fma_f16 v93, v75, v70, v71
	;;#ASMEND
	v_ashrrev_i32_e32 v74, 8, v95
	;;#ASMSTART
	v_and_or_b32 v66, v74, v66, v67
	;;#ASMEND
	;;#ASMSTART
	v_and_or_b32 v67, v74, v68, v67
	;;#ASMEND
	s_nop 0
	;;#ASMSTART
	v_pk_add_f16 v94, v66, v69
	;;#ASMEND
	;;#ASMSTART
	v_pk_fma_f16 v95, v67, v70, v71
	;;#ASMEND
	; sched_barrier mask(0x00000000)
	s_barrier
	; sched_barrier mask(0x00000000)
	v_mfma_f32_16x16x32_f16 v[18:21], v[14:17], v[18:21], v[38:41]
	v_mfma_f32_16x16x32_f16 v[18:21], v[10:13], v[42:45], v[18:21]
	;; [unrolled: 1-line block ×4, first 2 shown]
	; sched_barrier mask(0x00000000)
	s_setprio 1
	; sched_barrier mask(0x00000000)
	v_mfma_f32_16x16x32_f16 v[22:25], v[14:17], v[54:57], v[34:37]
	v_mfma_f32_16x16x32_f16 v[30:33], v[14:17], v[80:83], v[30:33]
	;; [unrolled: 1-line block ×8, first 2 shown]
	; sched_barrier mask(0x00000000)
	s_waitcnt lgkmcnt(0)
	s_barrier
	; sched_barrier mask(0x00000000)
	v_mfma_f32_16x16x32_f16 v[14:17], v[14:17], v[96:99], v[26:29]
	v_mfma_f32_16x16x32_f16 v[10:13], v[10:13], v[100:103], v[14:17]
	;; [unrolled: 1-line block ×4, first 2 shown]
	; sched_barrier mask(0x00000000)
	s_setprio 0
	; sched_barrier mask(0x00000000)
	s_nop 5
	v_lshlrev_b32_e32 v6, 2, v0
	v_lshlrev_b32_e32 v0, 4, v0
	v_and_b32_e32 v0, 0x300, v0
	v_cvt_f16_f32_e32 v10, v18
	v_lshl_or_b32 v0, v73, 1, v0
	v_lshl_add_u32 v11, v72, 1, v0
	v_cvt_f16_f32_e32 v0, v19
	v_cvt_f16_f32_e32 v12, v20
	v_and_b32_e32 v6, 28, v6
	v_cvt_f16_f32_e32 v13, v21
	s_waitcnt lgkmcnt(0)
	s_barrier
	ds_write_b16 v11, v10
	ds_write_b16 v11, v0 offset:64
	ds_write_b16 v11, v12 offset:128
	;; [unrolled: 1-line block ×3, first 2 shown]
	v_lshlrev_b32_e32 v0, 1, v6
	v_or_b32_e32 v7, s6, v6
	v_lshl_or_b32 v6, v1, 6, v0
	v_lshl_or_b32 v8, s11, 4, v1
	s_waitcnt lgkmcnt(0)
	s_barrier
	ds_read_b64 v[0:1], v6
	v_mul_lo_u32 v9, v8, s9
	v_cmp_gt_i32_e32 vcc, s5, v7
	v_cmp_gt_i32_e64 s[0:1], s4, v8
	s_add_i32 s2, s5, s2
	s_lshl_b32 s14, s2, 1
	v_add_lshl_u32 v8, v9, v7, 1
	v_bfrev_b32_e32 v9, 1
	s_and_b64 s[2:3], s[0:1], vcc
	v_cndmask_b32_e64 v10, v9, 0, s[2:3]
	s_mov_b32 s15, 0x20000
	v_add_u32_e32 v10, v10, v8
	s_waitcnt lgkmcnt(0)
	buffer_atomic_pk_add_f16 v0, v10, s[12:15], 0 offen
	buffer_atomic_pk_add_f16 v1, v10, s[12:15], 4 offen
	v_cvt_f16_f32_e32 v0, v22
	v_cvt_f16_f32_e32 v1, v23
	v_cvt_f16_f32_e32 v12, v24
	v_cvt_f16_f32_e32 v13, v25
	v_or_b32_e32 v10, 32, v7
	s_waitcnt lgkmcnt(0)
	s_barrier
	ds_write_b16 v11, v0
	ds_write_b16 v11, v1 offset:64
	ds_write_b16 v11, v12 offset:128
	ds_write_b16 v11, v13 offset:192
	s_waitcnt lgkmcnt(0)
	s_barrier
	ds_read_b64 v[0:1], v6
	v_cmp_gt_i32_e32 vcc, s5, v10
	s_and_b64 s[2:3], s[0:1], vcc
	v_cndmask_b32_e64 v10, v9, 0, s[2:3]
	v_add_u32_e32 v10, v8, v10
	s_waitcnt lgkmcnt(0)
	buffer_atomic_pk_add_f16 v0, v10, s[12:15], 0 offen offset:64
	buffer_atomic_pk_add_f16 v1, v10, s[12:15], 4 offen offset:64
	v_cvt_f16_f32_e32 v0, v30
	v_cvt_f16_f32_e32 v1, v31
	v_cvt_f16_f32_e32 v12, v32
	v_cvt_f16_f32_e32 v13, v33
	v_or_b32_e32 v10, 64, v7
	s_waitcnt lgkmcnt(0)
	s_barrier
	ds_write_b16 v11, v0
	ds_write_b16 v11, v1 offset:64
	ds_write_b16 v11, v12 offset:128
	ds_write_b16 v11, v13 offset:192
	s_waitcnt lgkmcnt(0)
	s_barrier
	ds_read_b64 v[0:1], v6
	v_cmp_gt_i32_e32 vcc, s5, v10
	s_and_b64 s[2:3], s[0:1], vcc
	v_cndmask_b32_e64 v10, v9, 0, s[2:3]
	v_add_u32_e32 v10, v8, v10
	s_waitcnt lgkmcnt(0)
	buffer_atomic_pk_add_f16 v0, v10, s[12:15], 0 offen offset:128
	buffer_atomic_pk_add_f16 v1, v10, s[12:15], 4 offen offset:128
	;; [unrolled: 21-line block ×3, first 2 shown]
	s_endpgm
	.section	.rodata,"a",@progbits
	.p2align	6, 0x0
	.amdhsa_kernel _ZN2ck27kernel_gemm_xdl_cshuffle_v3INS_28GridwiseGemm_xdl_cshuffle_v3INS_13tensor_layout4gemm8RowMajorENS3_11ColumnMajorES4_DF16_NS_7pk_i4_tEfDF16_DF16_NS_16tensor_operation12element_wise11PassThroughES9_S9_LNS7_6device18GemmSpecializationE0ELi128ELi16ELi128ELi128ELi8ELi32ELi16ELi16ELi1ELi4ENS_8SequenceIJLi16ELi8ELi1EEEENSC_IJLi1ELi0ELi2EEEESE_Li2ELi8ELi8ELb0ELi0ENSC_IJLi4ELi32ELi1EEEESE_SE_Li2ELi32ELi32ELb0ELi0ELi1ELi1ENSC_IJLi1ELi16ELi1ELi8EEEELi4ELNS_26BlockGemmPipelineSchedulerE1ELNS_24BlockGemmPipelineVersionE1EDF16_DF16_Lb0ELb1ELb0ELi0ELb0EEELb1ELNS_25InMemoryDataOperationEnumE1ELi2ELNS_10TailNumberE10EEEvNT_8ArgumentE
		.amdhsa_group_segment_fixed_size 12288
		.amdhsa_private_segment_fixed_size 0
		.amdhsa_kernarg_size 112
		.amdhsa_user_sgpr_count 2
		.amdhsa_user_sgpr_dispatch_ptr 0
		.amdhsa_user_sgpr_queue_ptr 0
		.amdhsa_user_sgpr_kernarg_segment_ptr 1
		.amdhsa_user_sgpr_dispatch_id 0
		.amdhsa_user_sgpr_kernarg_preload_length 0
		.amdhsa_user_sgpr_kernarg_preload_offset 0
		.amdhsa_user_sgpr_private_segment_size 0
		.amdhsa_uses_dynamic_stack 0
		.amdhsa_enable_private_segment 0
		.amdhsa_system_sgpr_workgroup_id_x 1
		.amdhsa_system_sgpr_workgroup_id_y 0
		.amdhsa_system_sgpr_workgroup_id_z 1
		.amdhsa_system_sgpr_workgroup_info 0
		.amdhsa_system_vgpr_workitem_id 0
		.amdhsa_next_free_vgpr 163
		.amdhsa_next_free_sgpr 75
		.amdhsa_accum_offset 164
		.amdhsa_reserve_vcc 1
		.amdhsa_float_round_mode_32 0
		.amdhsa_float_round_mode_16_64 0
		.amdhsa_float_denorm_mode_32 3
		.amdhsa_float_denorm_mode_16_64 3
		.amdhsa_dx10_clamp 1
		.amdhsa_ieee_mode 1
		.amdhsa_fp16_overflow 0
		.amdhsa_tg_split 0
		.amdhsa_exception_fp_ieee_invalid_op 0
		.amdhsa_exception_fp_denorm_src 0
		.amdhsa_exception_fp_ieee_div_zero 0
		.amdhsa_exception_fp_ieee_overflow 0
		.amdhsa_exception_fp_ieee_underflow 0
		.amdhsa_exception_fp_ieee_inexact 0
		.amdhsa_exception_int_div_zero 0
	.end_amdhsa_kernel
	.section	.text._ZN2ck27kernel_gemm_xdl_cshuffle_v3INS_28GridwiseGemm_xdl_cshuffle_v3INS_13tensor_layout4gemm8RowMajorENS3_11ColumnMajorES4_DF16_NS_7pk_i4_tEfDF16_DF16_NS_16tensor_operation12element_wise11PassThroughES9_S9_LNS7_6device18GemmSpecializationE0ELi128ELi16ELi128ELi128ELi8ELi32ELi16ELi16ELi1ELi4ENS_8SequenceIJLi16ELi8ELi1EEEENSC_IJLi1ELi0ELi2EEEESE_Li2ELi8ELi8ELb0ELi0ENSC_IJLi4ELi32ELi1EEEESE_SE_Li2ELi32ELi32ELb0ELi0ELi1ELi1ENSC_IJLi1ELi16ELi1ELi8EEEELi4ELNS_26BlockGemmPipelineSchedulerE1ELNS_24BlockGemmPipelineVersionE1EDF16_DF16_Lb0ELb1ELb0ELi0ELb0EEELb1ELNS_25InMemoryDataOperationEnumE1ELi2ELNS_10TailNumberE10EEEvNT_8ArgumentE,"axG",@progbits,_ZN2ck27kernel_gemm_xdl_cshuffle_v3INS_28GridwiseGemm_xdl_cshuffle_v3INS_13tensor_layout4gemm8RowMajorENS3_11ColumnMajorES4_DF16_NS_7pk_i4_tEfDF16_DF16_NS_16tensor_operation12element_wise11PassThroughES9_S9_LNS7_6device18GemmSpecializationE0ELi128ELi16ELi128ELi128ELi8ELi32ELi16ELi16ELi1ELi4ENS_8SequenceIJLi16ELi8ELi1EEEENSC_IJLi1ELi0ELi2EEEESE_Li2ELi8ELi8ELb0ELi0ENSC_IJLi4ELi32ELi1EEEESE_SE_Li2ELi32ELi32ELb0ELi0ELi1ELi1ENSC_IJLi1ELi16ELi1ELi8EEEELi4ELNS_26BlockGemmPipelineSchedulerE1ELNS_24BlockGemmPipelineVersionE1EDF16_DF16_Lb0ELb1ELb0ELi0ELb0EEELb1ELNS_25InMemoryDataOperationEnumE1ELi2ELNS_10TailNumberE10EEEvNT_8ArgumentE,comdat
.Lfunc_end2:
	.size	_ZN2ck27kernel_gemm_xdl_cshuffle_v3INS_28GridwiseGemm_xdl_cshuffle_v3INS_13tensor_layout4gemm8RowMajorENS3_11ColumnMajorES4_DF16_NS_7pk_i4_tEfDF16_DF16_NS_16tensor_operation12element_wise11PassThroughES9_S9_LNS7_6device18GemmSpecializationE0ELi128ELi16ELi128ELi128ELi8ELi32ELi16ELi16ELi1ELi4ENS_8SequenceIJLi16ELi8ELi1EEEENSC_IJLi1ELi0ELi2EEEESE_Li2ELi8ELi8ELb0ELi0ENSC_IJLi4ELi32ELi1EEEESE_SE_Li2ELi32ELi32ELb0ELi0ELi1ELi1ENSC_IJLi1ELi16ELi1ELi8EEEELi4ELNS_26BlockGemmPipelineSchedulerE1ELNS_24BlockGemmPipelineVersionE1EDF16_DF16_Lb0ELb1ELb0ELi0ELb0EEELb1ELNS_25InMemoryDataOperationEnumE1ELi2ELNS_10TailNumberE10EEEvNT_8ArgumentE, .Lfunc_end2-_ZN2ck27kernel_gemm_xdl_cshuffle_v3INS_28GridwiseGemm_xdl_cshuffle_v3INS_13tensor_layout4gemm8RowMajorENS3_11ColumnMajorES4_DF16_NS_7pk_i4_tEfDF16_DF16_NS_16tensor_operation12element_wise11PassThroughES9_S9_LNS7_6device18GemmSpecializationE0ELi128ELi16ELi128ELi128ELi8ELi32ELi16ELi16ELi1ELi4ENS_8SequenceIJLi16ELi8ELi1EEEENSC_IJLi1ELi0ELi2EEEESE_Li2ELi8ELi8ELb0ELi0ENSC_IJLi4ELi32ELi1EEEESE_SE_Li2ELi32ELi32ELb0ELi0ELi1ELi1ENSC_IJLi1ELi16ELi1ELi8EEEELi4ELNS_26BlockGemmPipelineSchedulerE1ELNS_24BlockGemmPipelineVersionE1EDF16_DF16_Lb0ELb1ELb0ELi0ELb0EEELb1ELNS_25InMemoryDataOperationEnumE1ELi2ELNS_10TailNumberE10EEEvNT_8ArgumentE
                                        ; -- End function
	.set _ZN2ck27kernel_gemm_xdl_cshuffle_v3INS_28GridwiseGemm_xdl_cshuffle_v3INS_13tensor_layout4gemm8RowMajorENS3_11ColumnMajorES4_DF16_NS_7pk_i4_tEfDF16_DF16_NS_16tensor_operation12element_wise11PassThroughES9_S9_LNS7_6device18GemmSpecializationE0ELi128ELi16ELi128ELi128ELi8ELi32ELi16ELi16ELi1ELi4ENS_8SequenceIJLi16ELi8ELi1EEEENSC_IJLi1ELi0ELi2EEEESE_Li2ELi8ELi8ELb0ELi0ENSC_IJLi4ELi32ELi1EEEESE_SE_Li2ELi32ELi32ELb0ELi0ELi1ELi1ENSC_IJLi1ELi16ELi1ELi8EEEELi4ELNS_26BlockGemmPipelineSchedulerE1ELNS_24BlockGemmPipelineVersionE1EDF16_DF16_Lb0ELb1ELb0ELi0ELb0EEELb1ELNS_25InMemoryDataOperationEnumE1ELi2ELNS_10TailNumberE10EEEvNT_8ArgumentE.num_vgpr, 163
	.set _ZN2ck27kernel_gemm_xdl_cshuffle_v3INS_28GridwiseGemm_xdl_cshuffle_v3INS_13tensor_layout4gemm8RowMajorENS3_11ColumnMajorES4_DF16_NS_7pk_i4_tEfDF16_DF16_NS_16tensor_operation12element_wise11PassThroughES9_S9_LNS7_6device18GemmSpecializationE0ELi128ELi16ELi128ELi128ELi8ELi32ELi16ELi16ELi1ELi4ENS_8SequenceIJLi16ELi8ELi1EEEENSC_IJLi1ELi0ELi2EEEESE_Li2ELi8ELi8ELb0ELi0ENSC_IJLi4ELi32ELi1EEEESE_SE_Li2ELi32ELi32ELb0ELi0ELi1ELi1ENSC_IJLi1ELi16ELi1ELi8EEEELi4ELNS_26BlockGemmPipelineSchedulerE1ELNS_24BlockGemmPipelineVersionE1EDF16_DF16_Lb0ELb1ELb0ELi0ELb0EEELb1ELNS_25InMemoryDataOperationEnumE1ELi2ELNS_10TailNumberE10EEEvNT_8ArgumentE.num_agpr, 0
	.set _ZN2ck27kernel_gemm_xdl_cshuffle_v3INS_28GridwiseGemm_xdl_cshuffle_v3INS_13tensor_layout4gemm8RowMajorENS3_11ColumnMajorES4_DF16_NS_7pk_i4_tEfDF16_DF16_NS_16tensor_operation12element_wise11PassThroughES9_S9_LNS7_6device18GemmSpecializationE0ELi128ELi16ELi128ELi128ELi8ELi32ELi16ELi16ELi1ELi4ENS_8SequenceIJLi16ELi8ELi1EEEENSC_IJLi1ELi0ELi2EEEESE_Li2ELi8ELi8ELb0ELi0ENSC_IJLi4ELi32ELi1EEEESE_SE_Li2ELi32ELi32ELb0ELi0ELi1ELi1ENSC_IJLi1ELi16ELi1ELi8EEEELi4ELNS_26BlockGemmPipelineSchedulerE1ELNS_24BlockGemmPipelineVersionE1EDF16_DF16_Lb0ELb1ELb0ELi0ELb0EEELb1ELNS_25InMemoryDataOperationEnumE1ELi2ELNS_10TailNumberE10EEEvNT_8ArgumentE.numbered_sgpr, 30
	.set _ZN2ck27kernel_gemm_xdl_cshuffle_v3INS_28GridwiseGemm_xdl_cshuffle_v3INS_13tensor_layout4gemm8RowMajorENS3_11ColumnMajorES4_DF16_NS_7pk_i4_tEfDF16_DF16_NS_16tensor_operation12element_wise11PassThroughES9_S9_LNS7_6device18GemmSpecializationE0ELi128ELi16ELi128ELi128ELi8ELi32ELi16ELi16ELi1ELi4ENS_8SequenceIJLi16ELi8ELi1EEEENSC_IJLi1ELi0ELi2EEEESE_Li2ELi8ELi8ELb0ELi0ENSC_IJLi4ELi32ELi1EEEESE_SE_Li2ELi32ELi32ELb0ELi0ELi1ELi1ENSC_IJLi1ELi16ELi1ELi8EEEELi4ELNS_26BlockGemmPipelineSchedulerE1ELNS_24BlockGemmPipelineVersionE1EDF16_DF16_Lb0ELb1ELb0ELi0ELb0EEELb1ELNS_25InMemoryDataOperationEnumE1ELi2ELNS_10TailNumberE10EEEvNT_8ArgumentE.num_named_barrier, 0
	.set _ZN2ck27kernel_gemm_xdl_cshuffle_v3INS_28GridwiseGemm_xdl_cshuffle_v3INS_13tensor_layout4gemm8RowMajorENS3_11ColumnMajorES4_DF16_NS_7pk_i4_tEfDF16_DF16_NS_16tensor_operation12element_wise11PassThroughES9_S9_LNS7_6device18GemmSpecializationE0ELi128ELi16ELi128ELi128ELi8ELi32ELi16ELi16ELi1ELi4ENS_8SequenceIJLi16ELi8ELi1EEEENSC_IJLi1ELi0ELi2EEEESE_Li2ELi8ELi8ELb0ELi0ENSC_IJLi4ELi32ELi1EEEESE_SE_Li2ELi32ELi32ELb0ELi0ELi1ELi1ENSC_IJLi1ELi16ELi1ELi8EEEELi4ELNS_26BlockGemmPipelineSchedulerE1ELNS_24BlockGemmPipelineVersionE1EDF16_DF16_Lb0ELb1ELb0ELi0ELb0EEELb1ELNS_25InMemoryDataOperationEnumE1ELi2ELNS_10TailNumberE10EEEvNT_8ArgumentE.private_seg_size, 0
	.set _ZN2ck27kernel_gemm_xdl_cshuffle_v3INS_28GridwiseGemm_xdl_cshuffle_v3INS_13tensor_layout4gemm8RowMajorENS3_11ColumnMajorES4_DF16_NS_7pk_i4_tEfDF16_DF16_NS_16tensor_operation12element_wise11PassThroughES9_S9_LNS7_6device18GemmSpecializationE0ELi128ELi16ELi128ELi128ELi8ELi32ELi16ELi16ELi1ELi4ENS_8SequenceIJLi16ELi8ELi1EEEENSC_IJLi1ELi0ELi2EEEESE_Li2ELi8ELi8ELb0ELi0ENSC_IJLi4ELi32ELi1EEEESE_SE_Li2ELi32ELi32ELb0ELi0ELi1ELi1ENSC_IJLi1ELi16ELi1ELi8EEEELi4ELNS_26BlockGemmPipelineSchedulerE1ELNS_24BlockGemmPipelineVersionE1EDF16_DF16_Lb0ELb1ELb0ELi0ELb0EEELb1ELNS_25InMemoryDataOperationEnumE1ELi2ELNS_10TailNumberE10EEEvNT_8ArgumentE.uses_vcc, 1
	.set _ZN2ck27kernel_gemm_xdl_cshuffle_v3INS_28GridwiseGemm_xdl_cshuffle_v3INS_13tensor_layout4gemm8RowMajorENS3_11ColumnMajorES4_DF16_NS_7pk_i4_tEfDF16_DF16_NS_16tensor_operation12element_wise11PassThroughES9_S9_LNS7_6device18GemmSpecializationE0ELi128ELi16ELi128ELi128ELi8ELi32ELi16ELi16ELi1ELi4ENS_8SequenceIJLi16ELi8ELi1EEEENSC_IJLi1ELi0ELi2EEEESE_Li2ELi8ELi8ELb0ELi0ENSC_IJLi4ELi32ELi1EEEESE_SE_Li2ELi32ELi32ELb0ELi0ELi1ELi1ENSC_IJLi1ELi16ELi1ELi8EEEELi4ELNS_26BlockGemmPipelineSchedulerE1ELNS_24BlockGemmPipelineVersionE1EDF16_DF16_Lb0ELb1ELb0ELi0ELb0EEELb1ELNS_25InMemoryDataOperationEnumE1ELi2ELNS_10TailNumberE10EEEvNT_8ArgumentE.uses_flat_scratch, 0
	.set _ZN2ck27kernel_gemm_xdl_cshuffle_v3INS_28GridwiseGemm_xdl_cshuffle_v3INS_13tensor_layout4gemm8RowMajorENS3_11ColumnMajorES4_DF16_NS_7pk_i4_tEfDF16_DF16_NS_16tensor_operation12element_wise11PassThroughES9_S9_LNS7_6device18GemmSpecializationE0ELi128ELi16ELi128ELi128ELi8ELi32ELi16ELi16ELi1ELi4ENS_8SequenceIJLi16ELi8ELi1EEEENSC_IJLi1ELi0ELi2EEEESE_Li2ELi8ELi8ELb0ELi0ENSC_IJLi4ELi32ELi1EEEESE_SE_Li2ELi32ELi32ELb0ELi0ELi1ELi1ENSC_IJLi1ELi16ELi1ELi8EEEELi4ELNS_26BlockGemmPipelineSchedulerE1ELNS_24BlockGemmPipelineVersionE1EDF16_DF16_Lb0ELb1ELb0ELi0ELb0EEELb1ELNS_25InMemoryDataOperationEnumE1ELi2ELNS_10TailNumberE10EEEvNT_8ArgumentE.has_dyn_sized_stack, 0
	.set _ZN2ck27kernel_gemm_xdl_cshuffle_v3INS_28GridwiseGemm_xdl_cshuffle_v3INS_13tensor_layout4gemm8RowMajorENS3_11ColumnMajorES4_DF16_NS_7pk_i4_tEfDF16_DF16_NS_16tensor_operation12element_wise11PassThroughES9_S9_LNS7_6device18GemmSpecializationE0ELi128ELi16ELi128ELi128ELi8ELi32ELi16ELi16ELi1ELi4ENS_8SequenceIJLi16ELi8ELi1EEEENSC_IJLi1ELi0ELi2EEEESE_Li2ELi8ELi8ELb0ELi0ENSC_IJLi4ELi32ELi1EEEESE_SE_Li2ELi32ELi32ELb0ELi0ELi1ELi1ENSC_IJLi1ELi16ELi1ELi8EEEELi4ELNS_26BlockGemmPipelineSchedulerE1ELNS_24BlockGemmPipelineVersionE1EDF16_DF16_Lb0ELb1ELb0ELi0ELb0EEELb1ELNS_25InMemoryDataOperationEnumE1ELi2ELNS_10TailNumberE10EEEvNT_8ArgumentE.has_recursion, 0
	.set _ZN2ck27kernel_gemm_xdl_cshuffle_v3INS_28GridwiseGemm_xdl_cshuffle_v3INS_13tensor_layout4gemm8RowMajorENS3_11ColumnMajorES4_DF16_NS_7pk_i4_tEfDF16_DF16_NS_16tensor_operation12element_wise11PassThroughES9_S9_LNS7_6device18GemmSpecializationE0ELi128ELi16ELi128ELi128ELi8ELi32ELi16ELi16ELi1ELi4ENS_8SequenceIJLi16ELi8ELi1EEEENSC_IJLi1ELi0ELi2EEEESE_Li2ELi8ELi8ELb0ELi0ENSC_IJLi4ELi32ELi1EEEESE_SE_Li2ELi32ELi32ELb0ELi0ELi1ELi1ENSC_IJLi1ELi16ELi1ELi8EEEELi4ELNS_26BlockGemmPipelineSchedulerE1ELNS_24BlockGemmPipelineVersionE1EDF16_DF16_Lb0ELb1ELb0ELi0ELb0EEELb1ELNS_25InMemoryDataOperationEnumE1ELi2ELNS_10TailNumberE10EEEvNT_8ArgumentE.has_indirect_call, 0
	.section	.AMDGPU.csdata,"",@progbits
; Kernel info:
; codeLenInByte = 12852
; TotalNumSgprs: 36
; NumVgprs: 163
; NumAgprs: 0
; TotalNumVgprs: 163
; ScratchSize: 0
; MemoryBound: 0
; FloatMode: 240
; IeeeMode: 1
; LDSByteSize: 12288 bytes/workgroup (compile time only)
; SGPRBlocks: 10
; VGPRBlocks: 20
; NumSGPRsForWavesPerEU: 81
; NumVGPRsForWavesPerEU: 163
; AccumOffset: 164
; Occupancy: 3
; WaveLimiterHint : 0
; COMPUTE_PGM_RSRC2:SCRATCH_EN: 0
; COMPUTE_PGM_RSRC2:USER_SGPR: 2
; COMPUTE_PGM_RSRC2:TRAP_HANDLER: 0
; COMPUTE_PGM_RSRC2:TGID_X_EN: 1
; COMPUTE_PGM_RSRC2:TGID_Y_EN: 0
; COMPUTE_PGM_RSRC2:TGID_Z_EN: 1
; COMPUTE_PGM_RSRC2:TIDIG_COMP_CNT: 0
; COMPUTE_PGM_RSRC3_GFX90A:ACCUM_OFFSET: 40
; COMPUTE_PGM_RSRC3_GFX90A:TG_SPLIT: 0
	.section	.text._ZN2ck27kernel_gemm_xdl_cshuffle_v3INS_28GridwiseGemm_xdl_cshuffle_v3INS_13tensor_layout4gemm8RowMajorENS3_11ColumnMajorES4_DF16_NS_7pk_i4_tEfDF16_DF16_NS_16tensor_operation12element_wise11PassThroughES9_S9_LNS7_6device18GemmSpecializationE0ELi128ELi16ELi128ELi128ELi8ELi32ELi16ELi16ELi1ELi4ENS_8SequenceIJLi16ELi8ELi1EEEENSC_IJLi1ELi0ELi2EEEESE_Li2ELi8ELi8ELb0ELi0ENSC_IJLi4ELi32ELi1EEEESE_SE_Li2ELi32ELi32ELb0ELi0ELi1ELi1ENSC_IJLi1ELi16ELi1ELi8EEEELi4ELNS_26BlockGemmPipelineSchedulerE1ELNS_24BlockGemmPipelineVersionE1EDF16_DF16_Lb0ELb1ELb0ELi0ELb0EEELb1ELNS_25InMemoryDataOperationEnumE0ELi2ELNS_10TailNumberE2EEEvNT_8ArgumentE,"axG",@progbits,_ZN2ck27kernel_gemm_xdl_cshuffle_v3INS_28GridwiseGemm_xdl_cshuffle_v3INS_13tensor_layout4gemm8RowMajorENS3_11ColumnMajorES4_DF16_NS_7pk_i4_tEfDF16_DF16_NS_16tensor_operation12element_wise11PassThroughES9_S9_LNS7_6device18GemmSpecializationE0ELi128ELi16ELi128ELi128ELi8ELi32ELi16ELi16ELi1ELi4ENS_8SequenceIJLi16ELi8ELi1EEEENSC_IJLi1ELi0ELi2EEEESE_Li2ELi8ELi8ELb0ELi0ENSC_IJLi4ELi32ELi1EEEESE_SE_Li2ELi32ELi32ELb0ELi0ELi1ELi1ENSC_IJLi1ELi16ELi1ELi8EEEELi4ELNS_26BlockGemmPipelineSchedulerE1ELNS_24BlockGemmPipelineVersionE1EDF16_DF16_Lb0ELb1ELb0ELi0ELb0EEELb1ELNS_25InMemoryDataOperationEnumE0ELi2ELNS_10TailNumberE2EEEvNT_8ArgumentE,comdat
	.protected	_ZN2ck27kernel_gemm_xdl_cshuffle_v3INS_28GridwiseGemm_xdl_cshuffle_v3INS_13tensor_layout4gemm8RowMajorENS3_11ColumnMajorES4_DF16_NS_7pk_i4_tEfDF16_DF16_NS_16tensor_operation12element_wise11PassThroughES9_S9_LNS7_6device18GemmSpecializationE0ELi128ELi16ELi128ELi128ELi8ELi32ELi16ELi16ELi1ELi4ENS_8SequenceIJLi16ELi8ELi1EEEENSC_IJLi1ELi0ELi2EEEESE_Li2ELi8ELi8ELb0ELi0ENSC_IJLi4ELi32ELi1EEEESE_SE_Li2ELi32ELi32ELb0ELi0ELi1ELi1ENSC_IJLi1ELi16ELi1ELi8EEEELi4ELNS_26BlockGemmPipelineSchedulerE1ELNS_24BlockGemmPipelineVersionE1EDF16_DF16_Lb0ELb1ELb0ELi0ELb0EEELb1ELNS_25InMemoryDataOperationEnumE0ELi2ELNS_10TailNumberE2EEEvNT_8ArgumentE ; -- Begin function _ZN2ck27kernel_gemm_xdl_cshuffle_v3INS_28GridwiseGemm_xdl_cshuffle_v3INS_13tensor_layout4gemm8RowMajorENS3_11ColumnMajorES4_DF16_NS_7pk_i4_tEfDF16_DF16_NS_16tensor_operation12element_wise11PassThroughES9_S9_LNS7_6device18GemmSpecializationE0ELi128ELi16ELi128ELi128ELi8ELi32ELi16ELi16ELi1ELi4ENS_8SequenceIJLi16ELi8ELi1EEEENSC_IJLi1ELi0ELi2EEEESE_Li2ELi8ELi8ELb0ELi0ENSC_IJLi4ELi32ELi1EEEESE_SE_Li2ELi32ELi32ELb0ELi0ELi1ELi1ENSC_IJLi1ELi16ELi1ELi8EEEELi4ELNS_26BlockGemmPipelineSchedulerE1ELNS_24BlockGemmPipelineVersionE1EDF16_DF16_Lb0ELb1ELb0ELi0ELb0EEELb1ELNS_25InMemoryDataOperationEnumE0ELi2ELNS_10TailNumberE2EEEvNT_8ArgumentE
	.globl	_ZN2ck27kernel_gemm_xdl_cshuffle_v3INS_28GridwiseGemm_xdl_cshuffle_v3INS_13tensor_layout4gemm8RowMajorENS3_11ColumnMajorES4_DF16_NS_7pk_i4_tEfDF16_DF16_NS_16tensor_operation12element_wise11PassThroughES9_S9_LNS7_6device18GemmSpecializationE0ELi128ELi16ELi128ELi128ELi8ELi32ELi16ELi16ELi1ELi4ENS_8SequenceIJLi16ELi8ELi1EEEENSC_IJLi1ELi0ELi2EEEESE_Li2ELi8ELi8ELb0ELi0ENSC_IJLi4ELi32ELi1EEEESE_SE_Li2ELi32ELi32ELb0ELi0ELi1ELi1ENSC_IJLi1ELi16ELi1ELi8EEEELi4ELNS_26BlockGemmPipelineSchedulerE1ELNS_24BlockGemmPipelineVersionE1EDF16_DF16_Lb0ELb1ELb0ELi0ELb0EEELb1ELNS_25InMemoryDataOperationEnumE0ELi2ELNS_10TailNumberE2EEEvNT_8ArgumentE
	.p2align	8
	.type	_ZN2ck27kernel_gemm_xdl_cshuffle_v3INS_28GridwiseGemm_xdl_cshuffle_v3INS_13tensor_layout4gemm8RowMajorENS3_11ColumnMajorES4_DF16_NS_7pk_i4_tEfDF16_DF16_NS_16tensor_operation12element_wise11PassThroughES9_S9_LNS7_6device18GemmSpecializationE0ELi128ELi16ELi128ELi128ELi8ELi32ELi16ELi16ELi1ELi4ENS_8SequenceIJLi16ELi8ELi1EEEENSC_IJLi1ELi0ELi2EEEESE_Li2ELi8ELi8ELb0ELi0ENSC_IJLi4ELi32ELi1EEEESE_SE_Li2ELi32ELi32ELb0ELi0ELi1ELi1ENSC_IJLi1ELi16ELi1ELi8EEEELi4ELNS_26BlockGemmPipelineSchedulerE1ELNS_24BlockGemmPipelineVersionE1EDF16_DF16_Lb0ELb1ELb0ELi0ELb0EEELb1ELNS_25InMemoryDataOperationEnumE0ELi2ELNS_10TailNumberE2EEEvNT_8ArgumentE,@function
_ZN2ck27kernel_gemm_xdl_cshuffle_v3INS_28GridwiseGemm_xdl_cshuffle_v3INS_13tensor_layout4gemm8RowMajorENS3_11ColumnMajorES4_DF16_NS_7pk_i4_tEfDF16_DF16_NS_16tensor_operation12element_wise11PassThroughES9_S9_LNS7_6device18GemmSpecializationE0ELi128ELi16ELi128ELi128ELi8ELi32ELi16ELi16ELi1ELi4ENS_8SequenceIJLi16ELi8ELi1EEEENSC_IJLi1ELi0ELi2EEEESE_Li2ELi8ELi8ELb0ELi0ENSC_IJLi4ELi32ELi1EEEESE_SE_Li2ELi32ELi32ELb0ELi0ELi1ELi1ENSC_IJLi1ELi16ELi1ELi8EEEELi4ELNS_26BlockGemmPipelineSchedulerE1ELNS_24BlockGemmPipelineVersionE1EDF16_DF16_Lb0ELb1ELb0ELi0ELb0EEELb1ELNS_25InMemoryDataOperationEnumE0ELi2ELNS_10TailNumberE2EEEvNT_8ArgumentE: ; @_ZN2ck27kernel_gemm_xdl_cshuffle_v3INS_28GridwiseGemm_xdl_cshuffle_v3INS_13tensor_layout4gemm8RowMajorENS3_11ColumnMajorES4_DF16_NS_7pk_i4_tEfDF16_DF16_NS_16tensor_operation12element_wise11PassThroughES9_S9_LNS7_6device18GemmSpecializationE0ELi128ELi16ELi128ELi128ELi8ELi32ELi16ELi16ELi1ELi4ENS_8SequenceIJLi16ELi8ELi1EEEENSC_IJLi1ELi0ELi2EEEESE_Li2ELi8ELi8ELb0ELi0ENSC_IJLi4ELi32ELi1EEEESE_SE_Li2ELi32ELi32ELb0ELi0ELi1ELi1ENSC_IJLi1ELi16ELi1ELi8EEEELi4ELNS_26BlockGemmPipelineSchedulerE1ELNS_24BlockGemmPipelineVersionE1EDF16_DF16_Lb0ELb1ELb0ELi0ELb0EEELb1ELNS_25InMemoryDataOperationEnumE0ELi2ELNS_10TailNumberE2EEEvNT_8ArgumentE
; %bb.0:
	s_load_dwordx8 s[4:11], s[0:1], 0x10
	s_load_dwordx2 s[16:17], s[0:1], 0x60
	s_waitcnt lgkmcnt(0)
	s_load_dword s11, s[0:1], 0x68
	s_load_dword s22, s[0:1], 0x3c
	s_load_dwordx4 s[12:15], s[0:1], 0x50
	s_cmp_gt_i32 s10, 1
	s_cselect_b64 s[18:19], -1, 0
	s_waitcnt lgkmcnt(0)
	s_bitcmp1_b32 s11, 0
	s_cselect_b64 s[20:21], -1, 0
	s_and_b64 s[18:19], s[18:19], s[20:21]
	s_andn2_b64 vcc, exec, s[18:19]
	s_mov_b64 s[18:19], 0
	s_cbranch_vccnz .LBB3_2
; %bb.1:
	s_mul_i32 s11, s4, s3
	s_mul_i32 s18, s11, s5
	s_ashr_i32 s19, s18, 31
.LBB3_2:
	s_load_dword s23, s[0:1], 0x34
	s_add_i32 s11, s4, -1
	s_cmp_lt_u32 s11, 16
	s_mov_b32 s21, 0
	s_cbranch_scc1 .LBB3_6
; %bb.3:
	s_add_i32 s0, s5, -1
	s_cmpk_lt_u32 s0, 0x80
	s_mov_b32 s0, 0
	s_cbranch_scc1 .LBB3_10
; %bb.4:
	s_add_i32 s0, s4, 15
	s_ashr_i32 s1, s0, 31
	s_lshr_b32 s1, s1, 28
	s_add_i32 s0, s0, s1
	s_ashr_i32 s24, s0, 4
	s_add_i32 s0, s5, 0x7f
	s_ashr_i32 s1, s0, 31
	s_lshr_b32 s1, s1, 25
	s_add_i32 s0, s0, s1
	s_ashr_i32 s20, s0, 7
	s_mul_i32 s0, s20, s24
	s_add_i32 s1, s0, 7
	s_ashr_i32 s25, s1, 31
	s_lshr_b32 s25, s25, 29
	s_add_i32 s1, s1, s25
	s_ashr_i32 s25, s1, 3
	s_and_b32 s1, s1, -8
	s_sub_i32 s26, s0, s1
	s_ashr_i32 s0, s2, 31
	s_lshr_b32 s0, s0, 29
	s_add_i32 s28, s2, s0
	s_and_b32 s0, s28, -8
	s_add_i32 s26, s26, 8
	s_sub_i32 s27, s2, s0
	s_cmp_gt_i32 s27, s26
	s_cbranch_scc1 .LBB3_7
; %bb.5:
	s_mul_i32 s2, s25, s27
	s_ashr_i32 s0, s28, 3
	s_cbranch_execz .LBB3_8
	s_branch .LBB3_9
.LBB3_6:
	s_mov_b32 s20, 0
	s_branch .LBB3_11
.LBB3_7:
                                        ; implicit-def: $sgpr2
	s_ashr_i32 s0, s28, 3
.LBB3_8:
	s_add_i32 s1, s25, -1
	s_mul_i32 s1, s1, s27
	s_add_i32 s2, s26, s1
.LBB3_9:
	s_abs_i32 s1, s20
	v_cvt_f32_u32_e32 v1, s1
	s_sub_i32 s26, 0, s1
	s_add_i32 s0, s2, s0
	s_abs_i32 s25, s0
	v_rcp_iflag_f32_e32 v1, v1
	s_xor_b32 s2, s0, s20
	s_ashr_i32 s2, s2, 31
	v_mul_f32_e32 v1, 0x4f7ffffe, v1
	v_cvt_u32_f32_e32 v1, v1
	s_nop 0
	v_readfirstlane_b32 s27, v1
	s_mul_i32 s26, s26, s27
	s_mul_hi_u32 s26, s27, s26
	s_add_i32 s27, s27, s26
	s_mul_hi_u32 s26, s25, s27
	s_mul_i32 s27, s26, s1
	s_sub_i32 s25, s25, s27
	s_add_i32 s28, s26, 1
	s_sub_i32 s27, s25, s1
	s_cmp_ge_u32 s25, s1
	s_cselect_b32 s26, s28, s26
	s_cselect_b32 s25, s27, s25
	s_add_i32 s27, s26, 1
	s_cmp_ge_u32 s25, s1
	s_cselect_b32 s1, s27, s26
	s_xor_b32 s1, s1, s2
	s_lshr_b32 s25, s24, 30
	s_sub_i32 s1, s1, s2
	s_add_i32 s25, s24, s25
	s_mul_i32 s2, s1, s20
	s_sub_i32 s0, s0, s2
	s_and_b32 s2, s25, -4
	s_sub_i32 s24, s24, s2
	s_cmp_ge_i32 s1, s2
	s_cselect_b32 s2, s24, 4
	s_abs_i32 s25, s2
	v_cvt_f32_u32_e32 v1, s25
	s_ashr_i32 s24, s1, 31
	s_lshr_b32 s24, s24, 30
	s_add_i32 s24, s1, s24
	v_rcp_iflag_f32_e32 v1, v1
	s_and_b32 s24, s24, -4
	s_sub_i32 s24, s1, s24
	s_sub_i32 s27, 0, s25
	v_mul_f32_e32 v1, 0x4f7ffffe, v1
	v_cvt_u32_f32_e32 v1, v1
	s_mul_i32 s20, s24, s20
	s_add_i32 s20, s20, s0
	s_abs_i32 s26, s20
	v_readfirstlane_b32 s28, v1
	s_mul_i32 s27, s27, s28
	s_mul_hi_u32 s27, s28, s27
	s_add_i32 s28, s28, s27
	s_mul_hi_u32 s27, s26, s28
	s_mul_i32 s28, s27, s25
	s_xor_b32 s0, s20, s2
	s_sub_i32 s26, s26, s28
	s_ashr_i32 s0, s0, 31
	s_add_i32 s28, s27, 1
	s_sub_i32 s29, s26, s25
	s_cmp_ge_u32 s26, s25
	s_cselect_b32 s27, s28, s27
	s_cselect_b32 s26, s29, s26
	s_add_i32 s28, s27, 1
	s_cmp_ge_u32 s26, s25
	s_cselect_b32 s25, s28, s27
	s_xor_b32 s25, s25, s0
	s_sub_i32 s0, s25, s0
	s_mul_i32 s2, s0, s2
	s_sub_i32 s2, s20, s2
	s_add_i32 s2, s2, s1
	s_sub_i32 s2, s2, s24
.LBB3_10:
	s_mov_b32 s20, s2
	s_mov_b32 s2, s0
.LBB3_11:
	s_waitcnt lgkmcnt(0)
	s_mul_i32 s0, s23, s3
	s_mul_i32 s1, s0, s5
	s_lshr_b32 s24, s1, 1
	s_ashr_i32 s1, s0, 31
	s_lshl_b64 s[0:1], s[0:1], 1
	s_add_u32 s0, s12, s0
	s_addc_u32 s1, s13, s1
	s_add_u32 s12, s14, s24
	s_addc_u32 s13, s15, 0
	s_ashr_i32 s15, s8, 31
	s_lshr_b32 s15, s15, 25
	s_add_i32 s10, s10, -1
	s_add_i32 s8, s8, s15
	s_mul_i32 s24, s10, s23
	v_lshrrev_b32_e32 v1, 3, v0
	s_ashr_i32 s15, s8, 7
	s_lshl_b32 s8, s5, 7
	s_sub_i32 s6, s6, s24
	v_and_b32_e32 v50, 14, v1
	s_cmp_lt_u32 s3, s10
	v_lshl_or_b32 v2, s20, 4, v50
	s_mul_i32 s14, s11, s7
	s_cselect_b32 s3, s23, s6
	v_and_b32_e32 v72, 15, v0
	v_mul_lo_u32 v51, v2, s7
	s_lshl_b32 s6, s2, 7
	v_lshl_add_u32 v18, v72, 3, v51
	v_and_b32_e32 v19, 0x7c, v0
	v_and_b32_e32 v52, 3, v0
	s_add_i32 s3, s3, s14
	v_or_b32_e32 v2, s6, v19
	v_lshlrev_b32_e32 v3, 5, v52
	s_lshl_b32 s2, s3, 1
	s_and_b32 s1, s1, 0xffff
	s_mov_b32 s3, 0x20000
	v_lshlrev_b32_e32 v10, 1, v18
	v_lshl_or_b32 v20, v2, 7, v3
	v_add_lshl_u32 v11, v18, s7, 1
	buffer_load_dwordx4 v[2:5], v10, s[0:3], 0 offen
	buffer_load_dwordx4 v[6:9], v11, s[0:3], 0 offen
	s_mul_i32 s10, s5, s15
	v_ashrrev_i32_e32 v21, 1, v20
	s_lshl_b32 s14, s10, 6
	s_and_b32 s13, s13, 0xffff
	s_mov_b32 s15, s3
	buffer_load_dwordx4 v[10:13], v21, s[12:15], 0 offen
	buffer_load_dwordx4 v[14:17], v21, s[12:15], 0 offen offset:64
	buffer_load_dwordx4 v[42:45], v21, s[12:15], 0 offen offset:128
	v_or_b32_e32 v26, 0x180, v20
	v_ashrrev_i32_e32 v20, 1, v26
	buffer_load_dwordx4 v[46:49], v20, s[12:15], 0 offen
	v_lshlrev_b32_e32 v22, 1, v0
	v_lshrrev_b32_e32 v21, 2, v0
	v_and_b32_e32 v20, 0x60, v22
	v_and_b32_e32 v73, 16, v21
	;; [unrolled: 1-line block ×3, first 2 shown]
	v_bitop3_b32 v74, v1, v72, 14 bitop3:0x6c
	v_lshrrev_b32_e32 v54, 1, v19
	v_lshlrev_b32_e32 v55, 1, v52
	v_lshlrev_b32_e32 v21, 7, v50
	v_lshrrev_b32_e32 v57, 3, v20
	v_or_b32_e32 v23, v73, v72
	v_lshrrev_b32_e32 v59, 4, v20
	v_bitop3_b32 v20, v50, v72, 1 bitop3:0x36
	v_lshlrev_b32_e32 v19, 7, v19
	v_bitop3_b32 v56, v54, v55, 6 bitop3:0x6c
	v_lshl_or_b32 v21, v74, 3, v21
	v_lshrrev_b32_e32 v23, 1, v23
	v_or_b32_e32 v24, v59, v53
	v_sub_u32_e32 v25, v20, v74
	v_sub_u32_e32 v20, v74, v20
	v_lshl_or_b32 v19, v56, 5, v19
	v_bitop3_b32 v63, v23, v24, 7 bitop3:0x6c
	v_lshlrev_b32_e32 v24, 1, v21
	v_lshlrev_b32_e32 v27, 3, v25
	;; [unrolled: 1-line block ×3, first 2 shown]
	v_and_b32_e32 v22, 6, v54
	v_add3_u32 v62, v27, v21, v20
	v_lshl_add_u32 v20, v25, 4, v24
	s_add_i32 s25, s8, 0xfffffe80
	v_add_u32_e32 v27, s25, v26
	v_lshlrev_b32_e32 v23, 8, v23
	v_add_u32_e32 v18, 0x80, v18
	v_lshl_or_b32 v64, v63, 5, v23
	v_bitop3_b32 v61, v57, v0, 15 bitop3:0x78
	s_ashr_i32 s24, s22, 31
	v_or_b32_e32 v88, 1, v1
	s_lshr_b32 s26, s24, 28
	s_add_i32 s22, s22, s26
	s_ashr_i32 s22, s22, 4
	v_mov_b32_e32 v60, 2
	s_movk_i32 s10, 0x80
	v_or_b32_e32 v86, 8, v52
	s_add_i32 s22, s22, -2
	v_lshrrev_b32_e32 v87, 1, v64
	v_mov_b32_e32 v91, 0xf000f
	v_mov_b32_e32 v92, 0x64006400
	s_waitcnt vmcnt(5)
	ds_write_b128 v24, v[2:5]
	s_waitcnt vmcnt(4)
	ds_write_b128 v20, v[6:9] offset:256
	v_lshrrev_b32_e32 v2, 1, v19
	v_ashrrev_i32_e32 v6, 1, v27
	v_add_u32_e32 v7, 0x80, v27
	v_add_lshl_u32 v5, v18, s7, 1
	s_waitcnt vmcnt(3)
	ds_write_b128 v2, v[10:13] offset:4096
	v_bitop3_b32 v2, v55, v22, 1 bitop3:0x36
	v_sub_u32_e32 v3, v2, v56
	v_lshlrev_b32_e32 v76, 5, v3
	v_add_u32_e32 v3, v76, v19
	v_ashrrev_i32_e32 v4, 1, v3
	s_waitcnt vmcnt(2)
	ds_write_b128 v4, v[14:17] offset:4096
	v_lshlrev_b32_e32 v4, 1, v18
	v_ashrrev_i32_e32 v7, 1, v7
	buffer_load_dwordx4 v[18:21], v6, s[12:15], 0 offen
	buffer_load_dwordx4 v[22:25], v7, s[12:15], 0 offen
	v_add_u32_e32 v6, 0x100, v27
	v_ashrrev_i32_e32 v6, 1, v6
	v_add_u32_e32 v7, s8, v26
	v_ashrrev_i32_e32 v8, 1, v7
	buffer_load_dwordx4 v[26:29], v6, s[12:15], 0 offen
	buffer_load_dwordx4 v[30:33], v8, s[12:15], 0 offen
	;; [unrolled: 1-line block ×4, first 2 shown]
	v_lshrrev_b32_e32 v4, 1, v0
	v_or_b32_e32 v5, 1, v4
	v_sub_u32_e32 v6, v5, v54
	v_bitop3_b32 v8, v5, v55, 7 bitop3:0x6c
	v_sub_u32_e32 v2, v8, v2
	v_lshlrev_b32_e32 v6, 8, v6
	v_lshl_add_u32 v79, v2, 5, v6
	v_add_u32_e32 v2, v79, v3
	v_bitop3_b32 v4, v4, 7, 1 bitop3:0xc8
	v_ashrrev_i32_e32 v3, 1, v2
	s_waitcnt vmcnt(7)
	ds_write_b128 v3, v[42:45] offset:4096
	v_bitop3_b32 v3, v55, v4, 1 bitop3:0x36
	v_sub_u32_e32 v4, v3, v8
	v_lshlrev_b32_e32 v80, 5, v4
	v_add_u32_e32 v100, v2, v80
	v_ashrrev_i32_e32 v2, 1, v100
	s_waitcnt vmcnt(6)
	ds_write_b128 v2, v[46:49] offset:4096
	v_sub_u32_e32 v2, v54, v5
	v_sub_u32_e32 v3, v56, v3
	v_lshlrev_b32_e32 v2, 8, v2
	v_lshl_add_u32 v85, v3, 5, v2
	v_lshlrev_b32_e32 v2, 8, v72
	v_lshl_or_b32 v81, v61, 4, v2
	v_bitop3_b32 v2, v57, v72, 1 bitop3:0x36
	v_sub_u32_e32 v2, v2, v61
	v_lshl_add_u32 v83, v2, 4, v81
	v_bitop3_b32 v2, v57, v72, 2 bitop3:0x36
	v_sub_u32_e32 v2, v2, v61
	v_lshl_add_u32 v82, v2, 4, v81
	;; [unrolled: 3-line block ×3, first 2 shown]
	v_bfe_u32 v2, v0, 1, 3
	v_bitop3_b32 v2, v59, v2, v53 bitop3:0x36
	v_sub_u32_e32 v2, v2, v63
	v_lshl_add_u32 v2, v2, 5, v64
	v_add_u32_e32 v3, 0x1000, v2
	v_lshrrev_b32_e32 v78, 1, v3
	v_add_u32_e32 v3, 0x2000, v2
	v_add_u32_e32 v2, 0x3000, v2
	v_lshrrev_b32_e32 v75, 1, v2
	v_sub_u32_e32 v2, v88, v50
	v_lshrrev_b32_e32 v77, 1, v3
	v_lshlrev_b32_e32 v89, 7, v2
	v_add_u32_e32 v90, -1, v2
	v_add_u32_e32 v2, s7, v51
	v_lshlrev_b32_e32 v3, 4, v72
	v_lshl_add_u32 v98, v2, 1, v3
	v_mov_b32_e32 v2, 0
	v_add_u32_e32 v58, s25, v7
	v_lshl_add_u32 v99, v51, 1, v3
	v_mov_b32_e32 v93, 0xf000f0
	v_mov_b32_e32 v94, 0xe408e408
	;; [unrolled: 1-line block ×20, first 2 shown]
.LBB3_12:                               ; =>This Inner Loop Header: Depth=1
	s_waitcnt lgkmcnt(0)
	s_barrier
	ds_read_b128 v[64:67], v87 offset:4096
	ds_read_b128 v[54:57], v81
	ds_read_b128 v[50:53], v83
	;; [unrolled: 1-line block ×4, first 2 shown]
	s_waitcnt lgkmcnt(4)
	;;#ASMSTART
	v_and_or_b32 v59, v64, v91, v92
	;;#ASMEND
	;;#ASMSTART
	v_and_or_b32 v61, v64, v93, v92
	;;#ASMEND
	s_nop 0
	;;#ASMSTART
	v_pk_add_f16 v68, v59, v94
	;;#ASMEND
	v_ashrrev_i32_e32 v59, 8, v64
	;;#ASMSTART
	v_pk_fma_f16 v69, v61, v95, v96
	;;#ASMEND
	;;#ASMSTART
	v_and_or_b32 v61, v59, v91, v92
	;;#ASMEND
	;;#ASMSTART
	v_and_or_b32 v59, v59, v93, v92
	;;#ASMEND
	s_nop 0
	;;#ASMSTART
	v_pk_add_f16 v70, v61, v94
	;;#ASMEND
	;;#ASMSTART
	v_pk_fma_f16 v71, v59, v95, v96
	;;#ASMEND
	;;#ASMSTART
	v_and_or_b32 v59, v65, v91, v92
	;;#ASMEND
	;;#ASMSTART
	v_and_or_b32 v61, v65, v93, v92
	;;#ASMEND
	s_nop 0
	;;#ASMSTART
	v_pk_add_f16 v102, v59, v94
	;;#ASMEND
	v_ashrrev_i32_e32 v59, 8, v65
	;;#ASMSTART
	v_pk_fma_f16 v103, v61, v95, v96
	;;#ASMEND
	;;#ASMSTART
	v_and_or_b32 v61, v59, v91, v92
	;;#ASMEND
	;;#ASMSTART
	v_and_or_b32 v59, v59, v93, v92
	;;#ASMEND
	s_nop 0
	;;#ASMSTART
	v_pk_add_f16 v104, v61, v94
	;;#ASMEND
	;;#ASMSTART
	v_pk_fma_f16 v105, v59, v95, v96
	;;#ASMEND
	;; [unrolled: 27-line block ×4, first 2 shown]
	ds_read_b128 v[110:113], v78 offset:4096
	s_waitcnt lgkmcnt(0)
	;;#ASMSTART
	v_and_or_b32 v59, v110, v91, v92
	;;#ASMEND
	;;#ASMSTART
	v_and_or_b32 v61, v110, v93, v92
	;;#ASMEND
	s_nop 0
	;;#ASMSTART
	v_pk_add_f16 v114, v59, v94
	;;#ASMEND
	v_ashrrev_i32_e32 v59, 8, v110
	;;#ASMSTART
	v_pk_fma_f16 v115, v61, v95, v96
	;;#ASMEND
	;;#ASMSTART
	v_and_or_b32 v61, v59, v91, v92
	;;#ASMEND
	;;#ASMSTART
	v_and_or_b32 v59, v59, v93, v92
	;;#ASMEND
	s_nop 0
	;;#ASMSTART
	v_pk_add_f16 v116, v61, v94
	;;#ASMEND
	;;#ASMSTART
	v_pk_fma_f16 v117, v59, v95, v96
	;;#ASMEND
	;;#ASMSTART
	v_and_or_b32 v59, v111, v91, v92
	;;#ASMEND
	;;#ASMSTART
	v_and_or_b32 v61, v111, v93, v92
	;;#ASMEND
	s_nop 0
	;;#ASMSTART
	v_pk_add_f16 v118, v59, v94
	;;#ASMEND
	v_ashrrev_i32_e32 v59, 8, v111
	;;#ASMSTART
	v_pk_fma_f16 v119, v61, v95, v96
	;;#ASMEND
	;;#ASMSTART
	v_and_or_b32 v61, v59, v91, v92
	;;#ASMEND
	;;#ASMSTART
	v_and_or_b32 v59, v59, v93, v92
	;;#ASMEND
	s_nop 0
	;;#ASMSTART
	v_pk_add_f16 v120, v61, v94
	;;#ASMEND
	;;#ASMSTART
	v_pk_fma_f16 v121, v59, v95, v96
	;;#ASMEND
	;; [unrolled: 27-line block ×4, first 2 shown]
	ds_read_b128 v[126:129], v77 offset:4096
	s_waitcnt lgkmcnt(0)
	;;#ASMSTART
	v_and_or_b32 v59, v126, v91, v92
	;;#ASMEND
	;;#ASMSTART
	v_and_or_b32 v61, v126, v93, v92
	;;#ASMEND
	s_nop 0
	;;#ASMSTART
	v_pk_add_f16 v130, v59, v94
	;;#ASMEND
	v_ashrrev_i32_e32 v59, 8, v126
	;;#ASMSTART
	v_pk_fma_f16 v131, v61, v95, v96
	;;#ASMEND
	;;#ASMSTART
	v_and_or_b32 v61, v59, v91, v92
	;;#ASMEND
	;;#ASMSTART
	v_and_or_b32 v59, v59, v93, v92
	;;#ASMEND
	s_nop 0
	;;#ASMSTART
	v_pk_add_f16 v132, v61, v94
	;;#ASMEND
	;;#ASMSTART
	v_pk_fma_f16 v133, v59, v95, v96
	;;#ASMEND
	;;#ASMSTART
	v_and_or_b32 v59, v127, v91, v92
	;;#ASMEND
	;;#ASMSTART
	v_and_or_b32 v61, v127, v93, v92
	;;#ASMEND
	s_nop 0
	;;#ASMSTART
	v_pk_add_f16 v134, v59, v94
	;;#ASMEND
	v_ashrrev_i32_e32 v59, 8, v127
	;;#ASMSTART
	v_pk_fma_f16 v135, v61, v95, v96
	;;#ASMEND
	;;#ASMSTART
	v_and_or_b32 v61, v59, v91, v92
	;;#ASMEND
	;;#ASMSTART
	v_and_or_b32 v59, v59, v93, v92
	;;#ASMEND
	s_nop 0
	;;#ASMSTART
	v_pk_add_f16 v136, v61, v94
	;;#ASMEND
	;;#ASMSTART
	v_pk_fma_f16 v137, v59, v95, v96
	;;#ASMEND
	;; [unrolled: 27-line block ×4, first 2 shown]
	ds_read_b128 v[142:145], v75 offset:4096
	s_waitcnt lgkmcnt(0)
	;;#ASMSTART
	v_and_or_b32 v61, v142, v91, v92
	;;#ASMEND
	;;#ASMSTART
	v_and_or_b32 v63, v142, v93, v92
	;;#ASMEND
	v_add_u32_e32 v59, v100, v85
	;;#ASMSTART
	v_pk_add_f16 v146, v61, v94
	;;#ASMEND
	v_ashrrev_i32_e32 v61, 8, v142
	;;#ASMSTART
	v_pk_fma_f16 v147, v63, v95, v96
	;;#ASMEND
	;;#ASMSTART
	v_and_or_b32 v63, v61, v91, v92
	;;#ASMEND
	;;#ASMSTART
	v_and_or_b32 v61, v61, v93, v92
	;;#ASMEND
	s_nop 0
	;;#ASMSTART
	v_pk_add_f16 v148, v63, v94
	;;#ASMEND
	;;#ASMSTART
	v_pk_fma_f16 v149, v61, v95, v96
	;;#ASMEND
	;;#ASMSTART
	v_and_or_b32 v61, v143, v91, v92
	;;#ASMEND
	;;#ASMSTART
	v_and_or_b32 v63, v143, v93, v92
	;;#ASMEND
	s_nop 0
	;;#ASMSTART
	v_pk_add_f16 v150, v61, v94
	;;#ASMEND
	v_ashrrev_i32_e32 v61, 8, v143
	;;#ASMSTART
	v_pk_fma_f16 v151, v63, v95, v96
	;;#ASMEND
	;;#ASMSTART
	v_and_or_b32 v63, v61, v91, v92
	;;#ASMEND
	;;#ASMSTART
	v_and_or_b32 v61, v61, v93, v92
	;;#ASMEND
	s_nop 0
	;;#ASMSTART
	v_pk_add_f16 v152, v63, v94
	;;#ASMEND
	;;#ASMSTART
	v_pk_fma_f16 v153, v61, v95, v96
	;;#ASMEND
	;;#ASMSTART
	v_and_or_b32 v61, v144, v91, v92
	;;#ASMEND
	;;#ASMSTART
	v_and_or_b32 v63, v144, v93, v92
	;;#ASMEND
	s_nop 0
	;; [unrolled: 27-line block ×3, first 2 shown]
	;;#ASMSTART
	v_pk_add_f16 v142, v61, v94
	;;#ASMEND
	v_ashrrev_i32_e32 v61, 8, v145
	;;#ASMSTART
	v_pk_fma_f16 v143, v63, v95, v96
	;;#ASMEND
	;;#ASMSTART
	v_and_or_b32 v63, v61, v91, v92
	;;#ASMEND
	;;#ASMSTART
	v_and_or_b32 v61, v61, v93, v92
	;;#ASMEND
	s_nop 0
	;;#ASMSTART
	v_pk_add_f16 v144, v63, v94
	;;#ASMEND
	;;#ASMSTART
	v_pk_fma_f16 v145, v61, v95, v96
	;;#ASMEND
	; sched_barrier mask(0x00000000)
	s_barrier
	; sched_barrier mask(0x00000000)
	v_mfma_f32_16x16x32_f16 v[14:17], v[54:57], v[68:71], v[14:17]
	v_mfma_f32_16x16x32_f16 v[14:17], v[50:53], v[102:105], v[14:17]
	;; [unrolled: 1-line block ×4, first 2 shown]
	; sched_barrier mask(0x00000000)
	s_setprio 1
	; sched_barrier mask(0x00000000)
	v_mfma_f32_16x16x32_f16 v[10:13], v[54:57], v[114:117], v[10:13]
	v_mfma_f32_16x16x32_f16 v[6:9], v[54:57], v[130:133], v[6:9]
	;; [unrolled: 1-line block ×8, first 2 shown]
	; sched_barrier mask(0x00000000)
	s_waitcnt lgkmcnt(0)
	s_barrier
	; sched_barrier mask(0x00000000)
	v_mfma_f32_16x16x32_f16 v[2:5], v[54:57], v[146:149], v[2:5]
	v_mfma_f32_16x16x32_f16 v[2:5], v[50:53], v[150:153], v[2:5]
	;; [unrolled: 1-line block ×4, first 2 shown]
	; sched_barrier mask(0x00000000)
	s_setprio 0
	; sched_barrier mask(0x00000000)
	v_lshlrev_b32_e32 v50, 1, v62
	v_ashrrev_i32_e32 v51, 31, v88
	v_add_u32_e32 v63, -1, v88
	v_lshrrev_b32_e32 v52, 31, v59
	v_add_u32_e32 v53, v59, v76
	v_add_u32_e32 v55, 0x80, v58
	buffer_load_dwordx4 v[46:49], v99, s[0:3], 0 offen offset:512
	buffer_load_dwordx4 v[42:45], v98, s[0:3], 0 offen offset:512
	v_lshrrev_b32_e32 v54, 31, v58
	v_add_u32_e32 v56, 0x100, v58
	v_add_u32_e32 v57, 0x180, v58
	v_add_u32_e64 v103, 3, s21
	s_waitcnt vmcnt(3)
	ds_write_b128 v50, v[38:41]
	v_lshrrev_b32_e32 v38, 28, v51
	v_ashrrev_i32_e32 v39, 31, v63
	v_add_u32_e32 v40, v59, v52
	v_lshrrev_b32_e32 v41, 31, v53
	v_add_u32_e32 v50, v53, v79
	v_lshrrev_b32_e32 v52, 31, v55
	;; [unrolled: 2-line block ×3, first 2 shown]
	v_lshrrev_b32_e32 v59, 31, v57
	v_sub_u32_e32 v60, v103, v60
	v_add_u32_e32 v38, v88, v38
	v_lshrrev_b32_e32 v39, 28, v39
	v_ashrrev_i32_e32 v64, 1, v40
	v_add_u32_e32 v40, v53, v41
	v_lshrrev_b32_e32 v41, 31, v50
	v_add_u32_e32 v100, v50, v80
	v_add_u32_e32 v52, v55, v52
	v_ashrrev_i32_e32 v51, 1, v51
	v_add_u32_e32 v53, v56, v54
	v_add_u32_e32 v54, v57, v59
	v_mad_u64_u32 v[70:71], s[24:25], v60, s8, v[58:59]
	v_and_b32_e32 v55, -16, v38
	v_add_u32_e32 v56, v63, v39
	v_add_u32_e32 v50, v50, v41
	v_lshrrev_b32_e32 v57, 31, v100
	v_ashrrev_i32_e32 v65, 1, v52
	v_ashrrev_i32_e32 v71, 1, v40
	buffer_load_dwordx4 v[38:41], v51, s[12:15], 0 offen
	v_ashrrev_i32_e32 v66, 1, v53
	v_ashrrev_i32_e32 v67, 1, v54
	v_sub_u32_e32 v68, v88, v55
	v_and_b32_e32 v69, -16, v56
	v_ashrrev_i32_e32 v157, 1, v50
	v_add_u32_e32 v104, v100, v57
	buffer_load_dwordx4 v[50:53], v65, s[12:15], 0 offen
	buffer_load_dwordx4 v[54:57], v66, s[12:15], 0 offen
	;; [unrolled: 1-line block ×3, first 2 shown]
	v_xor_b32_e32 v158, v68, v72
	v_sub_u32_e32 v63, v63, v69
	v_sub_u32_e32 v65, v158, v74
	v_xor_b32_e32 v74, v63, v72
	v_lshlrev_b32_e32 v63, 3, v65
	v_add3_u32 v62, v62, v89, v63
	v_lshlrev_b32_e32 v161, 1, v62
	v_ashrrev_i32_e32 v159, 1, v104
	v_sub_u32_e32 v65, v74, v158
	s_waitcnt vmcnt(6)
	ds_write_b128 v161, v[34:37]
	ds_write_b128 v64, v[18:21] offset:4096
	ds_write_b128 v71, v[22:25] offset:4096
	ds_write_b128 v157, v[26:29] offset:4096
	ds_write_b128 v159, v[30:33] offset:4096
	s_waitcnt lgkmcnt(0)
	s_barrier
	ds_read_b128 v[104:107], v87 offset:4096
	ds_read_b128 v[30:33], v81
	ds_read_b128 v[26:29], v83
	;; [unrolled: 1-line block ×4, first 2 shown]
	v_lshl_add_u32 v160, v65, 3, v97
	s_waitcnt lgkmcnt(4)
	;;#ASMSTART
	v_and_or_b32 v34, v104, v91, v92
	;;#ASMEND
	;;#ASMSTART
	v_and_or_b32 v35, v104, v93, v92
	;;#ASMEND
	v_add_u32_e32 v162, v160, v62
	v_ashrrev_i32_e32 v36, 8, v104
	;;#ASMSTART
	v_pk_add_f16 v34, v34, v94
	;;#ASMEND
	;;#ASMSTART
	v_pk_fma_f16 v35, v35, v95, v96
	;;#ASMEND
	;;#ASMSTART
	v_and_or_b32 v37, v36, v91, v92
	;;#ASMEND
	;;#ASMSTART
	v_and_or_b32 v62, v36, v93, v92
	;;#ASMEND
	v_ashrrev_i32_e32 v64, 8, v105
	;;#ASMSTART
	v_pk_add_f16 v36, v37, v94
	;;#ASMEND
	;;#ASMSTART
	v_pk_fma_f16 v37, v62, v95, v96
	;;#ASMEND
	;;#ASMSTART
	v_and_or_b32 v62, v105, v91, v92
	;;#ASMEND
	;;#ASMSTART
	v_and_or_b32 v63, v105, v93, v92
	;;#ASMEND
	;; [unrolled: 13-line block ×4, first 2 shown]
	v_add_u32_e32 v101, 0x200, v99
	;;#ASMSTART
	v_pk_add_f16 v66, v66, v94
	;;#ASMEND
	;;#ASMSTART
	v_pk_fma_f16 v67, v67, v95, v96
	;;#ASMEND
	;;#ASMSTART
	v_and_or_b32 v69, v68, v91, v92
	;;#ASMEND
	;;#ASMSTART
	v_and_or_b32 v104, v68, v93, v92
	;;#ASMEND
	v_add_u32_e32 v102, 0x200, v98
	;;#ASMSTART
	v_pk_add_f16 v68, v69, v94
	;;#ASMEND
	;;#ASMSTART
	v_pk_fma_f16 v69, v104, v95, v96
	;;#ASMEND
	;;#ASMSTART
	v_and_or_b32 v104, v107, v91, v92
	;;#ASMEND
	;;#ASMSTART
	v_and_or_b32 v105, v107, v93, v92
	;;#ASMEND
	;; [unrolled: 13-line block ×3, first 2 shown]
	s_nop 0
	;;#ASMSTART
	v_pk_add_f16 v106, v106, v94
	;;#ASMEND
	;;#ASMSTART
	v_pk_fma_f16 v107, v107, v95, v96
	;;#ASMEND
	ds_read_b128 v[108:111], v78 offset:4096
	s_waitcnt lgkmcnt(0)
	;;#ASMSTART
	v_and_or_b32 v112, v108, v91, v92
	;;#ASMEND
	;;#ASMSTART
	v_and_or_b32 v113, v108, v93, v92
	;;#ASMEND
	v_ashrrev_i32_e32 v108, 8, v108
	;;#ASMSTART
	v_pk_add_f16 v112, v112, v94
	;;#ASMEND
	;;#ASMSTART
	v_pk_fma_f16 v113, v113, v95, v96
	;;#ASMEND
	;;#ASMSTART
	v_and_or_b32 v114, v108, v91, v92
	;;#ASMEND
	;;#ASMSTART
	v_and_or_b32 v108, v108, v93, v92
	;;#ASMEND
	v_ashrrev_i32_e32 v118, 8, v109
	;;#ASMSTART
	v_pk_add_f16 v114, v114, v94
	;;#ASMEND
	;;#ASMSTART
	v_pk_fma_f16 v115, v108, v95, v96
	;;#ASMEND
	;; [unrolled: 13-line block ×4, first 2 shown]
	;;#ASMSTART
	v_and_or_b32 v108, v110, v91, v92
	;;#ASMEND
	;;#ASMSTART
	v_and_or_b32 v109, v110, v93, v92
	;;#ASMEND
	s_nop 0
	;;#ASMSTART
	v_pk_add_f16 v120, v108, v94
	;;#ASMEND
	;;#ASMSTART
	v_pk_fma_f16 v121, v109, v95, v96
	;;#ASMEND
	;;#ASMSTART
	v_and_or_b32 v108, v122, v91, v92
	;;#ASMEND
	;;#ASMSTART
	v_and_or_b32 v109, v122, v93, v92
	;;#ASMEND
	s_nop 0
	;;#ASMSTART
	v_pk_add_f16 v122, v108, v94
	;;#ASMEND
	;;#ASMSTART
	v_pk_fma_f16 v123, v109, v95, v96
	;;#ASMEND
	;; [unrolled: 13-line block ×4, first 2 shown]
	ds_read_b128 v[124:127], v77 offset:4096
	s_waitcnt lgkmcnt(0)
	;;#ASMSTART
	v_and_or_b32 v128, v124, v91, v92
	;;#ASMEND
	;;#ASMSTART
	v_and_or_b32 v129, v124, v93, v92
	;;#ASMEND
	v_ashrrev_i32_e32 v124, 8, v124
	;;#ASMSTART
	v_pk_add_f16 v128, v128, v94
	;;#ASMEND
	;;#ASMSTART
	v_pk_fma_f16 v129, v129, v95, v96
	;;#ASMEND
	;;#ASMSTART
	v_and_or_b32 v130, v124, v91, v92
	;;#ASMEND
	;;#ASMSTART
	v_and_or_b32 v124, v124, v93, v92
	;;#ASMEND
	v_ashrrev_i32_e32 v134, 8, v125
	;;#ASMSTART
	v_pk_add_f16 v130, v130, v94
	;;#ASMEND
	;;#ASMSTART
	v_pk_fma_f16 v131, v124, v95, v96
	;;#ASMEND
	;;#ASMSTART
	v_and_or_b32 v124, v125, v91, v92
	;;#ASMEND
	;;#ASMSTART
	v_and_or_b32 v125, v125, v93, v92
	;;#ASMEND
	v_ashrrev_i32_e32 v138, 8, v126
	;;#ASMSTART
	v_pk_add_f16 v132, v124, v94
	;;#ASMEND
	;;#ASMSTART
	v_pk_fma_f16 v133, v125, v95, v96
	;;#ASMEND
	;;#ASMSTART
	v_and_or_b32 v124, v134, v91, v92
	;;#ASMEND
	;;#ASMSTART
	v_and_or_b32 v125, v134, v93, v92
	;;#ASMEND
	v_ashrrev_i32_e32 v140, 8, v127
	;;#ASMSTART
	v_pk_add_f16 v134, v124, v94
	;;#ASMEND
	;;#ASMSTART
	v_pk_fma_f16 v135, v125, v95, v96
	;;#ASMEND
	;;#ASMSTART
	v_and_or_b32 v124, v126, v91, v92
	;;#ASMEND
	;;#ASMSTART
	v_and_or_b32 v125, v126, v93, v92
	;;#ASMEND
	s_nop 0
	;;#ASMSTART
	v_pk_add_f16 v136, v124, v94
	;;#ASMEND
	;;#ASMSTART
	v_pk_fma_f16 v137, v125, v95, v96
	;;#ASMEND
	;;#ASMSTART
	v_and_or_b32 v124, v138, v91, v92
	;;#ASMEND
	;;#ASMSTART
	v_and_or_b32 v125, v138, v93, v92
	;;#ASMEND
	s_nop 0
	;;#ASMSTART
	v_pk_add_f16 v138, v124, v94
	;;#ASMEND
	;;#ASMSTART
	v_pk_fma_f16 v139, v125, v95, v96
	;;#ASMEND
	;; [unrolled: 13-line block ×4, first 2 shown]
	ds_read_b128 v[140:143], v75 offset:4096
	s_waitcnt lgkmcnt(0)
	;;#ASMSTART
	v_and_or_b32 v144, v140, v91, v92
	;;#ASMEND
	;;#ASMSTART
	v_and_or_b32 v145, v140, v93, v92
	;;#ASMEND
	v_ashrrev_i32_e32 v140, 8, v140
	;;#ASMSTART
	v_pk_add_f16 v144, v144, v94
	;;#ASMEND
	;;#ASMSTART
	v_pk_fma_f16 v145, v145, v95, v96
	;;#ASMEND
	;;#ASMSTART
	v_and_or_b32 v146, v140, v91, v92
	;;#ASMEND
	;;#ASMSTART
	v_and_or_b32 v140, v140, v93, v92
	;;#ASMEND
	v_ashrrev_i32_e32 v150, 8, v141
	;;#ASMSTART
	v_pk_add_f16 v146, v146, v94
	;;#ASMEND
	;;#ASMSTART
	v_pk_fma_f16 v147, v140, v95, v96
	;;#ASMEND
	;; [unrolled: 13-line block ×4, first 2 shown]
	;;#ASMSTART
	v_and_or_b32 v140, v142, v91, v92
	;;#ASMEND
	;;#ASMSTART
	v_and_or_b32 v141, v142, v93, v92
	;;#ASMEND
	s_nop 0
	;;#ASMSTART
	v_pk_add_f16 v152, v140, v94
	;;#ASMEND
	;;#ASMSTART
	v_pk_fma_f16 v153, v141, v95, v96
	;;#ASMEND
	;;#ASMSTART
	v_and_or_b32 v140, v154, v91, v92
	;;#ASMEND
	;;#ASMSTART
	v_and_or_b32 v141, v154, v93, v92
	;;#ASMEND
	s_nop 0
	;;#ASMSTART
	v_pk_add_f16 v154, v140, v94
	;;#ASMEND
	;;#ASMSTART
	v_pk_fma_f16 v155, v141, v95, v96
	;;#ASMEND
	;; [unrolled: 13-line block ×4, first 2 shown]
	; sched_barrier mask(0x00000000)
	s_barrier
	; sched_barrier mask(0x00000000)
	v_mfma_f32_16x16x32_f16 v[14:17], v[30:33], v[34:37], v[14:17]
	v_mfma_f32_16x16x32_f16 v[14:17], v[26:29], v[62:65], v[14:17]
	;; [unrolled: 1-line block ×4, first 2 shown]
	; sched_barrier mask(0x00000000)
	s_setprio 1
	; sched_barrier mask(0x00000000)
	v_mfma_f32_16x16x32_f16 v[10:13], v[30:33], v[112:115], v[10:13]
	v_mfma_f32_16x16x32_f16 v[6:9], v[30:33], v[128:131], v[6:9]
	;; [unrolled: 1-line block ×8, first 2 shown]
	; sched_barrier mask(0x00000000)
	s_waitcnt lgkmcnt(0)
	s_barrier
	; sched_barrier mask(0x00000000)
	v_mfma_f32_16x16x32_f16 v[2:5], v[30:33], v[144:147], v[2:5]
	v_mfma_f32_16x16x32_f16 v[2:5], v[26:29], v[148:151], v[2:5]
	v_mfma_f32_16x16x32_f16 v[2:5], v[22:25], v[152:155], v[2:5]
	v_mfma_f32_16x16x32_f16 v[2:5], v[18:21], v[140:143], v[2:5]
	; sched_barrier mask(0x00000000)
	s_setprio 0
	; sched_barrier mask(0x00000000)
	v_lshl_add_u32 v18, v160, 1, v161
	v_sub_u32_e32 v19, v158, v74
	s_waitcnt vmcnt(5)
	ds_write_b128 v18, v[46:49]
	v_lshl_add_u32 v18, v19, 4, v18
	s_waitcnt vmcnt(4)
	ds_write_b128 v18, v[42:45] offset:256
	v_lshrrev_b32_e32 v18, 31, v156
	v_add_u32_e32 v18, v156, v18
	v_ashrrev_i32_e32 v18, 1, v18
	v_add_u32_e32 v22, 0x80, v70
	v_add_u32_e32 v26, 0x100, v70
	;; [unrolled: 1-line block ×3, first 2 shown]
	s_waitcnt vmcnt(3)
	ds_write_b128 v18, v[38:41] offset:4096
	s_waitcnt vmcnt(2)
	ds_write_b128 v71, v[50:53] offset:4096
	;; [unrolled: 2-line block ×4, first 2 shown]
	v_lshrrev_b32_e32 v18, 31, v70
	v_lshrrev_b32_e32 v23, 31, v22
	;; [unrolled: 1-line block ×4, first 2 shown]
	v_add_u32_e32 v18, v70, v18
	v_add_u32_e32 v22, v22, v23
	;; [unrolled: 1-line block ×4, first 2 shown]
	v_lshl_add_u32 v20, v19, 3, v162
	v_ashrrev_i32_e32 v18, 1, v18
	v_ashrrev_i32_e32 v22, 1, v22
	;; [unrolled: 1-line block ×4, first 2 shown]
	v_add3_u32 v62, v20, v160, s10
	buffer_load_dwordx4 v[38:41], v99, s[0:3], 0 offen offset:768
	buffer_load_dwordx4 v[34:37], v98, s[0:3], 0 offen offset:768
	v_add_u32_e64 v42, 4, s21
	buffer_load_dwordx4 v[18:21], v18, s[12:15], 0 offen
	v_add_u32_e32 v86, 8, v86
	buffer_load_dwordx4 v[22:25], v22, s[12:15], 0 offen
	v_sub_u32_e32 v42, v42, v103
	buffer_load_dwordx4 v[26:29], v26, s[12:15], 0 offen
	s_add_i32 s21, s21, 2
	buffer_load_dwordx4 v[30:33], v30, s[12:15], 0 offen
	v_lshrrev_b32_e32 v60, 2, v86
	v_mad_u64_u32 v[58:59], s[24:25], v42, s8, v[70:71]
	v_add_u32_e32 v88, v88, v90
	s_cmp_lt_i32 s21, s22
	v_mov_b32_e32 v99, v101
	v_mov_b32_e32 v98, v102
	s_cbranch_scc1 .LBB3_12
; %bb.13:
	s_waitcnt lgkmcnt(0)
	s_barrier
	s_waitcnt vmcnt(0)
	ds_read_b128 v[30:33], v81
	ds_read_b128 v[26:29], v83
	ds_read_b128 v[40:43], v87 offset:4096
	ds_read_b128 v[22:25], v82
	ds_read_b128 v[18:21], v84
	v_mov_b32_e32 v74, 0xf000f
	v_mov_b32_e32 v104, 0x64006400
	s_waitcnt lgkmcnt(2)
	;;#ASMSTART
	v_and_or_b32 v34, v40, v74, v104
	;;#ASMEND
	v_mov_b32_e32 v105, 0xf000f0
	;;#ASMSTART
	v_and_or_b32 v35, v40, v105, v104
	;;#ASMEND
	v_mov_b32_e32 v106, 0xe408e408
	;;#ASMSTART
	v_pk_add_f16 v34, v34, v106
	;;#ASMEND
	v_mov_b32_e32 v107, 0x2c002c00
	v_mov_b32_e32 v108, 0xd480d480
	;;#ASMSTART
	v_pk_fma_f16 v35, v35, v107, v108
	;;#ASMEND
	v_ashrrev_i32_e32 v36, 8, v40
	;;#ASMSTART
	v_and_or_b32 v37, v36, v74, v104
	;;#ASMEND
	;;#ASMSTART
	v_and_or_b32 v38, v36, v105, v104
	;;#ASMEND
	v_ashrrev_i32_e32 v40, 8, v41
	;;#ASMSTART
	v_pk_add_f16 v36, v37, v106
	;;#ASMEND
	;;#ASMSTART
	v_pk_fma_f16 v37, v38, v107, v108
	;;#ASMEND
	;;#ASMSTART
	v_and_or_b32 v38, v41, v74, v104
	;;#ASMEND
	;;#ASMSTART
	v_and_or_b32 v39, v41, v105, v104
	;;#ASMEND
	s_lshl_b64 s[0:1], s[18:19], 1
	;;#ASMSTART
	v_pk_add_f16 v38, v38, v106
	;;#ASMEND
	;;#ASMSTART
	v_pk_fma_f16 v39, v39, v107, v108
	;;#ASMEND
	;;#ASMSTART
	v_and_or_b32 v41, v40, v74, v104
	;;#ASMEND
	;;#ASMSTART
	v_and_or_b32 v44, v40, v105, v104
	;;#ASMEND
	s_add_u32 s8, s16, s0
	;;#ASMSTART
	v_pk_add_f16 v40, v41, v106
	;;#ASMEND
	;;#ASMSTART
	v_pk_fma_f16 v41, v44, v107, v108
	;;#ASMEND
	;;#ASMSTART
	v_and_or_b32 v44, v42, v74, v104
	;;#ASMEND
	;;#ASMSTART
	v_and_or_b32 v45, v42, v105, v104
	;;#ASMEND
	v_ashrrev_i32_e32 v42, 8, v42
	;;#ASMSTART
	v_pk_add_f16 v44, v44, v106
	;;#ASMEND
	;;#ASMSTART
	v_pk_fma_f16 v45, v45, v107, v108
	;;#ASMEND
	;;#ASMSTART
	v_and_or_b32 v46, v42, v74, v104
	;;#ASMEND
	;;#ASMSTART
	v_and_or_b32 v42, v42, v105, v104
	;;#ASMEND
	s_addc_u32 s2, s17, s1
	;;#ASMSTART
	v_pk_add_f16 v46, v46, v106
	;;#ASMEND
	;;#ASMSTART
	v_pk_fma_f16 v47, v42, v107, v108
	;;#ASMEND
	;;#ASMSTART
	v_and_or_b32 v42, v43, v74, v104
	;;#ASMEND
	;;#ASMSTART
	v_and_or_b32 v49, v43, v105, v104
	;;#ASMEND
	s_mul_i32 s0, s11, s9
	;;#ASMSTART
	v_pk_add_f16 v48, v42, v106
	;;#ASMEND
	v_ashrrev_i32_e32 v42, 8, v43
	;;#ASMSTART
	v_pk_fma_f16 v49, v49, v107, v108
	;;#ASMEND
	;;#ASMSTART
	v_and_or_b32 v43, v42, v74, v104
	;;#ASMEND
	;;#ASMSTART
	v_and_or_b32 v42, v42, v105, v104
	;;#ASMEND
	s_mul_hi_u32 s1, 0, s9
	;;#ASMSTART
	v_pk_add_f16 v50, v43, v106
	;;#ASMEND
	;;#ASMSTART
	v_pk_fma_f16 v51, v42, v107, v108
	;;#ASMEND
	ds_read_b128 v[52:55], v78 offset:4096
	s_waitcnt lgkmcnt(0)
	;;#ASMSTART
	v_and_or_b32 v42, v52, v74, v104
	;;#ASMEND
	;;#ASMSTART
	v_and_or_b32 v43, v52, v105, v104
	;;#ASMEND
	s_add_i32 s3, s1, s0
	;;#ASMSTART
	v_pk_add_f16 v56, v42, v106
	;;#ASMEND
	v_ashrrev_i32_e32 v42, 8, v52
	;;#ASMSTART
	v_pk_fma_f16 v57, v43, v107, v108
	;;#ASMEND
	;;#ASMSTART
	v_and_or_b32 v43, v42, v74, v104
	;;#ASMEND
	;;#ASMSTART
	v_and_or_b32 v42, v42, v105, v104
	;;#ASMEND
	s_nop 0
	;;#ASMSTART
	v_pk_add_f16 v58, v43, v106
	;;#ASMEND
	;;#ASMSTART
	v_pk_fma_f16 v59, v42, v107, v108
	;;#ASMEND
	;;#ASMSTART
	v_and_or_b32 v42, v53, v74, v104
	;;#ASMEND
	;;#ASMSTART
	v_and_or_b32 v43, v53, v105, v104
	;;#ASMEND
	s_nop 0
	;;#ASMSTART
	v_pk_add_f16 v60, v42, v106
	;;#ASMEND
	v_ashrrev_i32_e32 v42, 8, v53
	;;#ASMSTART
	v_pk_fma_f16 v61, v43, v107, v108
	;;#ASMEND
	;;#ASMSTART
	v_and_or_b32 v43, v42, v74, v104
	;;#ASMEND
	;;#ASMSTART
	v_and_or_b32 v42, v42, v105, v104
	;;#ASMEND
	s_nop 0
	;;#ASMSTART
	v_pk_add_f16 v62, v43, v106
	;;#ASMEND
	;;#ASMSTART
	v_pk_fma_f16 v63, v42, v107, v108
	;;#ASMEND
	;;#ASMSTART
	v_and_or_b32 v42, v54, v74, v104
	;;#ASMEND
	;;#ASMSTART
	v_and_or_b32 v43, v54, v105, v104
	;;#ASMEND
	s_nop 0
	;; [unrolled: 27-line block ×3, first 2 shown]
	;;#ASMSTART
	v_pk_add_f16 v52, v42, v106
	;;#ASMEND
	v_ashrrev_i32_e32 v42, 8, v55
	;;#ASMSTART
	v_pk_fma_f16 v53, v43, v107, v108
	;;#ASMEND
	;;#ASMSTART
	v_and_or_b32 v43, v42, v74, v104
	;;#ASMEND
	;;#ASMSTART
	v_and_or_b32 v42, v42, v105, v104
	;;#ASMEND
	s_nop 0
	;;#ASMSTART
	v_pk_add_f16 v54, v43, v106
	;;#ASMEND
	;;#ASMSTART
	v_pk_fma_f16 v55, v42, v107, v108
	;;#ASMEND
	ds_read_b128 v[68:71], v77 offset:4096
	s_waitcnt lgkmcnt(0)
	;;#ASMSTART
	v_and_or_b32 v42, v68, v74, v104
	;;#ASMEND
	;;#ASMSTART
	v_and_or_b32 v43, v68, v105, v104
	;;#ASMEND
	s_nop 0
	;;#ASMSTART
	v_pk_add_f16 v76, v42, v106
	;;#ASMEND
	v_ashrrev_i32_e32 v42, 8, v68
	;;#ASMSTART
	v_pk_fma_f16 v77, v43, v107, v108
	;;#ASMEND
	;;#ASMSTART
	v_and_or_b32 v43, v42, v74, v104
	;;#ASMEND
	;;#ASMSTART
	v_and_or_b32 v42, v42, v105, v104
	;;#ASMEND
	s_nop 0
	;;#ASMSTART
	v_pk_add_f16 v78, v43, v106
	;;#ASMEND
	;;#ASMSTART
	v_pk_fma_f16 v79, v42, v107, v108
	;;#ASMEND
	;;#ASMSTART
	v_and_or_b32 v42, v69, v74, v104
	;;#ASMEND
	;;#ASMSTART
	v_and_or_b32 v43, v69, v105, v104
	;;#ASMEND
	s_nop 0
	;;#ASMSTART
	v_pk_add_f16 v80, v42, v106
	;;#ASMEND
	v_ashrrev_i32_e32 v42, 8, v69
	;;#ASMSTART
	v_pk_fma_f16 v81, v43, v107, v108
	;;#ASMEND
	;;#ASMSTART
	v_and_or_b32 v43, v42, v74, v104
	;;#ASMEND
	;;#ASMSTART
	v_and_or_b32 v42, v42, v105, v104
	;;#ASMEND
	s_nop 0
	;;#ASMSTART
	v_pk_add_f16 v82, v43, v106
	;;#ASMEND
	;;#ASMSTART
	v_pk_fma_f16 v83, v42, v107, v108
	;;#ASMEND
	;; [unrolled: 27-line block ×4, first 2 shown]
	ds_read_b128 v[88:91], v75 offset:4096
	s_waitcnt lgkmcnt(0)
	;;#ASMSTART
	v_and_or_b32 v42, v88, v74, v104
	;;#ASMEND
	;;#ASMSTART
	v_and_or_b32 v43, v88, v105, v104
	;;#ASMEND
	s_nop 0
	;;#ASMSTART
	v_pk_add_f16 v92, v42, v106
	;;#ASMEND
	v_ashrrev_i32_e32 v42, 8, v88
	;;#ASMSTART
	v_pk_fma_f16 v93, v43, v107, v108
	;;#ASMEND
	;;#ASMSTART
	v_and_or_b32 v43, v42, v74, v104
	;;#ASMEND
	;;#ASMSTART
	v_and_or_b32 v42, v42, v105, v104
	;;#ASMEND
	s_nop 0
	;;#ASMSTART
	v_pk_add_f16 v94, v43, v106
	;;#ASMEND
	;;#ASMSTART
	v_pk_fma_f16 v95, v42, v107, v108
	;;#ASMEND
	;;#ASMSTART
	v_and_or_b32 v42, v89, v74, v104
	;;#ASMEND
	;;#ASMSTART
	v_and_or_b32 v43, v89, v105, v104
	;;#ASMEND
	s_nop 0
	;;#ASMSTART
	v_pk_add_f16 v96, v42, v106
	;;#ASMEND
	v_ashrrev_i32_e32 v42, 8, v89
	;;#ASMSTART
	v_pk_fma_f16 v97, v43, v107, v108
	;;#ASMEND
	;;#ASMSTART
	v_and_or_b32 v43, v42, v74, v104
	;;#ASMEND
	;;#ASMSTART
	v_and_or_b32 v42, v42, v105, v104
	;;#ASMEND
	s_nop 0
	;;#ASMSTART
	v_pk_add_f16 v98, v43, v106
	;;#ASMEND
	;;#ASMSTART
	v_pk_fma_f16 v99, v42, v107, v108
	;;#ASMEND
	;; [unrolled: 27-line block ×4, first 2 shown]
	; sched_barrier mask(0x00000000)
	s_barrier
	; sched_barrier mask(0x00000000)
	v_mfma_f32_16x16x32_f16 v[14:17], v[30:33], v[34:37], v[14:17]
	v_mfma_f32_16x16x32_f16 v[14:17], v[26:29], v[38:41], v[14:17]
	;; [unrolled: 1-line block ×4, first 2 shown]
	; sched_barrier mask(0x00000000)
	s_setprio 1
	; sched_barrier mask(0x00000000)
	v_mfma_f32_16x16x32_f16 v[10:13], v[30:33], v[56:59], v[10:13]
	v_mfma_f32_16x16x32_f16 v[6:9], v[30:33], v[76:79], v[6:9]
	;; [unrolled: 1-line block ×8, first 2 shown]
	; sched_barrier mask(0x00000000)
	s_waitcnt lgkmcnt(0)
	s_barrier
	; sched_barrier mask(0x00000000)
	v_mfma_f32_16x16x32_f16 v[2:5], v[30:33], v[92:95], v[2:5]
	v_mfma_f32_16x16x32_f16 v[2:5], v[26:29], v[96:99], v[2:5]
	;; [unrolled: 1-line block ×4, first 2 shown]
	; sched_barrier mask(0x00000000)
	s_setprio 0
	; sched_barrier mask(0x00000000)
	v_lshlrev_b32_e32 v18, 2, v0
	v_lshlrev_b32_e32 v0, 4, v0
	v_and_b32_e32 v0, 0x300, v0
	v_cvt_f16_f32_e32 v14, v14
	v_lshl_or_b32 v0, v73, 1, v0
	v_lshl_add_u32 v22, v72, 1, v0
	v_cvt_f16_f32_e32 v0, v15
	v_cvt_f16_f32_e32 v15, v16
	v_and_b32_e32 v18, 28, v18
	v_cvt_f16_f32_e32 v16, v17
	s_waitcnt lgkmcnt(0)
	s_barrier
	ds_write_b16 v22, v14
	ds_write_b16 v22, v0 offset:64
	ds_write_b16 v22, v15 offset:128
	;; [unrolled: 1-line block ×3, first 2 shown]
	v_lshlrev_b32_e32 v0, 1, v18
	v_lshl_or_b32 v14, v1, 6, v0
	v_or_b32_e32 v19, s6, v18
	v_lshl_or_b32 v20, s20, 4, v1
	s_waitcnt lgkmcnt(0)
	s_barrier
	ds_read_b64 v[0:1], v14
	v_cmp_gt_i32_e32 vcc, s5, v19
	v_cmp_gt_i32_e64 s[0:1], s4, v20
	s_add_i32 s3, s5, s3
	v_mul_lo_u32 v21, v20, s9
	s_lshl_b32 s10, s3, 1
	s_and_b32 s9, s2, 0xffff
	v_bfrev_b32_e32 v16, 1
	s_and_b64 s[2:3], s[0:1], vcc
	v_add_lshl_u32 v15, v21, v19, 1
	v_cndmask_b32_e64 v17, v16, 0, s[2:3]
	s_mov_b32 s11, 0x20000
	v_add_u32_e32 v17, v17, v15
	s_waitcnt lgkmcnt(0)
	buffer_store_dwordx2 v[0:1], v17, s[8:11], 0 offen
	v_cvt_f16_f32_e32 v0, v10
	v_cvt_f16_f32_e32 v1, v11
	v_cvt_f16_f32_e32 v10, v12
	v_cvt_f16_f32_e32 v11, v13
	v_or_b32_e32 v17, 32, v19
	s_waitcnt lgkmcnt(0)
	s_barrier
	ds_write_b16 v22, v0
	ds_write_b16 v22, v1 offset:64
	ds_write_b16 v22, v10 offset:128
	ds_write_b16 v22, v11 offset:192
	s_waitcnt lgkmcnt(0)
	s_barrier
	ds_read_b64 v[0:1], v14
	v_cmp_gt_i32_e32 vcc, s5, v17
	s_and_b64 s[2:3], s[0:1], vcc
	v_cndmask_b32_e64 v10, v16, 0, s[2:3]
	v_add_u32_e32 v10, v15, v10
	s_waitcnt lgkmcnt(0)
	buffer_store_dwordx2 v[0:1], v10, s[8:11], 0 offen offset:64
	v_cvt_f16_f32_e32 v0, v6
	v_cvt_f16_f32_e32 v1, v7
	v_cvt_f16_f32_e32 v6, v8
	v_cvt_f16_f32_e32 v7, v9
	v_or_b32_e32 v10, 64, v19
	s_waitcnt lgkmcnt(0)
	s_barrier
	ds_write_b16 v22, v0
	ds_write_b16 v22, v1 offset:64
	ds_write_b16 v22, v6 offset:128
	ds_write_b16 v22, v7 offset:192
	s_waitcnt lgkmcnt(0)
	s_barrier
	ds_read_b64 v[0:1], v14
	v_cmp_gt_i32_e32 vcc, s5, v10
	s_and_b64 s[2:3], s[0:1], vcc
	v_cndmask_b32_e64 v6, v16, 0, s[2:3]
	v_add_u32_e32 v6, v15, v6
	s_waitcnt lgkmcnt(0)
	buffer_store_dwordx2 v[0:1], v6, s[8:11], 0 offen offset:128
	;; [unrolled: 20-line block ×3, first 2 shown]
	s_endpgm
	.section	.rodata,"a",@progbits
	.p2align	6, 0x0
	.amdhsa_kernel _ZN2ck27kernel_gemm_xdl_cshuffle_v3INS_28GridwiseGemm_xdl_cshuffle_v3INS_13tensor_layout4gemm8RowMajorENS3_11ColumnMajorES4_DF16_NS_7pk_i4_tEfDF16_DF16_NS_16tensor_operation12element_wise11PassThroughES9_S9_LNS7_6device18GemmSpecializationE0ELi128ELi16ELi128ELi128ELi8ELi32ELi16ELi16ELi1ELi4ENS_8SequenceIJLi16ELi8ELi1EEEENSC_IJLi1ELi0ELi2EEEESE_Li2ELi8ELi8ELb0ELi0ENSC_IJLi4ELi32ELi1EEEESE_SE_Li2ELi32ELi32ELb0ELi0ELi1ELi1ENSC_IJLi1ELi16ELi1ELi8EEEELi4ELNS_26BlockGemmPipelineSchedulerE1ELNS_24BlockGemmPipelineVersionE1EDF16_DF16_Lb0ELb1ELb0ELi0ELb0EEELb1ELNS_25InMemoryDataOperationEnumE0ELi2ELNS_10TailNumberE2EEEvNT_8ArgumentE
		.amdhsa_group_segment_fixed_size 12288
		.amdhsa_private_segment_fixed_size 0
		.amdhsa_kernarg_size 112
		.amdhsa_user_sgpr_count 2
		.amdhsa_user_sgpr_dispatch_ptr 0
		.amdhsa_user_sgpr_queue_ptr 0
		.amdhsa_user_sgpr_kernarg_segment_ptr 1
		.amdhsa_user_sgpr_dispatch_id 0
		.amdhsa_user_sgpr_kernarg_preload_length 0
		.amdhsa_user_sgpr_kernarg_preload_offset 0
		.amdhsa_user_sgpr_private_segment_size 0
		.amdhsa_uses_dynamic_stack 0
		.amdhsa_enable_private_segment 0
		.amdhsa_system_sgpr_workgroup_id_x 1
		.amdhsa_system_sgpr_workgroup_id_y 0
		.amdhsa_system_sgpr_workgroup_id_z 1
		.amdhsa_system_sgpr_workgroup_info 0
		.amdhsa_system_vgpr_workitem_id 0
		.amdhsa_next_free_vgpr 164
		.amdhsa_next_free_sgpr 75
		.amdhsa_accum_offset 164
		.amdhsa_reserve_vcc 1
		.amdhsa_float_round_mode_32 0
		.amdhsa_float_round_mode_16_64 0
		.amdhsa_float_denorm_mode_32 3
		.amdhsa_float_denorm_mode_16_64 3
		.amdhsa_dx10_clamp 1
		.amdhsa_ieee_mode 1
		.amdhsa_fp16_overflow 0
		.amdhsa_tg_split 0
		.amdhsa_exception_fp_ieee_invalid_op 0
		.amdhsa_exception_fp_denorm_src 0
		.amdhsa_exception_fp_ieee_div_zero 0
		.amdhsa_exception_fp_ieee_overflow 0
		.amdhsa_exception_fp_ieee_underflow 0
		.amdhsa_exception_fp_ieee_inexact 0
		.amdhsa_exception_int_div_zero 0
	.end_amdhsa_kernel
	.section	.text._ZN2ck27kernel_gemm_xdl_cshuffle_v3INS_28GridwiseGemm_xdl_cshuffle_v3INS_13tensor_layout4gemm8RowMajorENS3_11ColumnMajorES4_DF16_NS_7pk_i4_tEfDF16_DF16_NS_16tensor_operation12element_wise11PassThroughES9_S9_LNS7_6device18GemmSpecializationE0ELi128ELi16ELi128ELi128ELi8ELi32ELi16ELi16ELi1ELi4ENS_8SequenceIJLi16ELi8ELi1EEEENSC_IJLi1ELi0ELi2EEEESE_Li2ELi8ELi8ELb0ELi0ENSC_IJLi4ELi32ELi1EEEESE_SE_Li2ELi32ELi32ELb0ELi0ELi1ELi1ENSC_IJLi1ELi16ELi1ELi8EEEELi4ELNS_26BlockGemmPipelineSchedulerE1ELNS_24BlockGemmPipelineVersionE1EDF16_DF16_Lb0ELb1ELb0ELi0ELb0EEELb1ELNS_25InMemoryDataOperationEnumE0ELi2ELNS_10TailNumberE2EEEvNT_8ArgumentE,"axG",@progbits,_ZN2ck27kernel_gemm_xdl_cshuffle_v3INS_28GridwiseGemm_xdl_cshuffle_v3INS_13tensor_layout4gemm8RowMajorENS3_11ColumnMajorES4_DF16_NS_7pk_i4_tEfDF16_DF16_NS_16tensor_operation12element_wise11PassThroughES9_S9_LNS7_6device18GemmSpecializationE0ELi128ELi16ELi128ELi128ELi8ELi32ELi16ELi16ELi1ELi4ENS_8SequenceIJLi16ELi8ELi1EEEENSC_IJLi1ELi0ELi2EEEESE_Li2ELi8ELi8ELb0ELi0ENSC_IJLi4ELi32ELi1EEEESE_SE_Li2ELi32ELi32ELb0ELi0ELi1ELi1ENSC_IJLi1ELi16ELi1ELi8EEEELi4ELNS_26BlockGemmPipelineSchedulerE1ELNS_24BlockGemmPipelineVersionE1EDF16_DF16_Lb0ELb1ELb0ELi0ELb0EEELb1ELNS_25InMemoryDataOperationEnumE0ELi2ELNS_10TailNumberE2EEEvNT_8ArgumentE,comdat
.Lfunc_end3:
	.size	_ZN2ck27kernel_gemm_xdl_cshuffle_v3INS_28GridwiseGemm_xdl_cshuffle_v3INS_13tensor_layout4gemm8RowMajorENS3_11ColumnMajorES4_DF16_NS_7pk_i4_tEfDF16_DF16_NS_16tensor_operation12element_wise11PassThroughES9_S9_LNS7_6device18GemmSpecializationE0ELi128ELi16ELi128ELi128ELi8ELi32ELi16ELi16ELi1ELi4ENS_8SequenceIJLi16ELi8ELi1EEEENSC_IJLi1ELi0ELi2EEEESE_Li2ELi8ELi8ELb0ELi0ENSC_IJLi4ELi32ELi1EEEESE_SE_Li2ELi32ELi32ELb0ELi0ELi1ELi1ENSC_IJLi1ELi16ELi1ELi8EEEELi4ELNS_26BlockGemmPipelineSchedulerE1ELNS_24BlockGemmPipelineVersionE1EDF16_DF16_Lb0ELb1ELb0ELi0ELb0EEELb1ELNS_25InMemoryDataOperationEnumE0ELi2ELNS_10TailNumberE2EEEvNT_8ArgumentE, .Lfunc_end3-_ZN2ck27kernel_gemm_xdl_cshuffle_v3INS_28GridwiseGemm_xdl_cshuffle_v3INS_13tensor_layout4gemm8RowMajorENS3_11ColumnMajorES4_DF16_NS_7pk_i4_tEfDF16_DF16_NS_16tensor_operation12element_wise11PassThroughES9_S9_LNS7_6device18GemmSpecializationE0ELi128ELi16ELi128ELi128ELi8ELi32ELi16ELi16ELi1ELi4ENS_8SequenceIJLi16ELi8ELi1EEEENSC_IJLi1ELi0ELi2EEEESE_Li2ELi8ELi8ELb0ELi0ENSC_IJLi4ELi32ELi1EEEESE_SE_Li2ELi32ELi32ELb0ELi0ELi1ELi1ENSC_IJLi1ELi16ELi1ELi8EEEELi4ELNS_26BlockGemmPipelineSchedulerE1ELNS_24BlockGemmPipelineVersionE1EDF16_DF16_Lb0ELb1ELb0ELi0ELb0EEELb1ELNS_25InMemoryDataOperationEnumE0ELi2ELNS_10TailNumberE2EEEvNT_8ArgumentE
                                        ; -- End function
	.set _ZN2ck27kernel_gemm_xdl_cshuffle_v3INS_28GridwiseGemm_xdl_cshuffle_v3INS_13tensor_layout4gemm8RowMajorENS3_11ColumnMajorES4_DF16_NS_7pk_i4_tEfDF16_DF16_NS_16tensor_operation12element_wise11PassThroughES9_S9_LNS7_6device18GemmSpecializationE0ELi128ELi16ELi128ELi128ELi8ELi32ELi16ELi16ELi1ELi4ENS_8SequenceIJLi16ELi8ELi1EEEENSC_IJLi1ELi0ELi2EEEESE_Li2ELi8ELi8ELb0ELi0ENSC_IJLi4ELi32ELi1EEEESE_SE_Li2ELi32ELi32ELb0ELi0ELi1ELi1ENSC_IJLi1ELi16ELi1ELi8EEEELi4ELNS_26BlockGemmPipelineSchedulerE1ELNS_24BlockGemmPipelineVersionE1EDF16_DF16_Lb0ELb1ELb0ELi0ELb0EEELb1ELNS_25InMemoryDataOperationEnumE0ELi2ELNS_10TailNumberE2EEEvNT_8ArgumentE.num_vgpr, 164
	.set _ZN2ck27kernel_gemm_xdl_cshuffle_v3INS_28GridwiseGemm_xdl_cshuffle_v3INS_13tensor_layout4gemm8RowMajorENS3_11ColumnMajorES4_DF16_NS_7pk_i4_tEfDF16_DF16_NS_16tensor_operation12element_wise11PassThroughES9_S9_LNS7_6device18GemmSpecializationE0ELi128ELi16ELi128ELi128ELi8ELi32ELi16ELi16ELi1ELi4ENS_8SequenceIJLi16ELi8ELi1EEEENSC_IJLi1ELi0ELi2EEEESE_Li2ELi8ELi8ELb0ELi0ENSC_IJLi4ELi32ELi1EEEESE_SE_Li2ELi32ELi32ELb0ELi0ELi1ELi1ENSC_IJLi1ELi16ELi1ELi8EEEELi4ELNS_26BlockGemmPipelineSchedulerE1ELNS_24BlockGemmPipelineVersionE1EDF16_DF16_Lb0ELb1ELb0ELi0ELb0EEELb1ELNS_25InMemoryDataOperationEnumE0ELi2ELNS_10TailNumberE2EEEvNT_8ArgumentE.num_agpr, 0
	.set _ZN2ck27kernel_gemm_xdl_cshuffle_v3INS_28GridwiseGemm_xdl_cshuffle_v3INS_13tensor_layout4gemm8RowMajorENS3_11ColumnMajorES4_DF16_NS_7pk_i4_tEfDF16_DF16_NS_16tensor_operation12element_wise11PassThroughES9_S9_LNS7_6device18GemmSpecializationE0ELi128ELi16ELi128ELi128ELi8ELi32ELi16ELi16ELi1ELi4ENS_8SequenceIJLi16ELi8ELi1EEEENSC_IJLi1ELi0ELi2EEEESE_Li2ELi8ELi8ELb0ELi0ENSC_IJLi4ELi32ELi1EEEESE_SE_Li2ELi32ELi32ELb0ELi0ELi1ELi1ENSC_IJLi1ELi16ELi1ELi8EEEELi4ELNS_26BlockGemmPipelineSchedulerE1ELNS_24BlockGemmPipelineVersionE1EDF16_DF16_Lb0ELb1ELb0ELi0ELb0EEELb1ELNS_25InMemoryDataOperationEnumE0ELi2ELNS_10TailNumberE2EEEvNT_8ArgumentE.numbered_sgpr, 30
	.set _ZN2ck27kernel_gemm_xdl_cshuffle_v3INS_28GridwiseGemm_xdl_cshuffle_v3INS_13tensor_layout4gemm8RowMajorENS3_11ColumnMajorES4_DF16_NS_7pk_i4_tEfDF16_DF16_NS_16tensor_operation12element_wise11PassThroughES9_S9_LNS7_6device18GemmSpecializationE0ELi128ELi16ELi128ELi128ELi8ELi32ELi16ELi16ELi1ELi4ENS_8SequenceIJLi16ELi8ELi1EEEENSC_IJLi1ELi0ELi2EEEESE_Li2ELi8ELi8ELb0ELi0ENSC_IJLi4ELi32ELi1EEEESE_SE_Li2ELi32ELi32ELb0ELi0ELi1ELi1ENSC_IJLi1ELi16ELi1ELi8EEEELi4ELNS_26BlockGemmPipelineSchedulerE1ELNS_24BlockGemmPipelineVersionE1EDF16_DF16_Lb0ELb1ELb0ELi0ELb0EEELb1ELNS_25InMemoryDataOperationEnumE0ELi2ELNS_10TailNumberE2EEEvNT_8ArgumentE.num_named_barrier, 0
	.set _ZN2ck27kernel_gemm_xdl_cshuffle_v3INS_28GridwiseGemm_xdl_cshuffle_v3INS_13tensor_layout4gemm8RowMajorENS3_11ColumnMajorES4_DF16_NS_7pk_i4_tEfDF16_DF16_NS_16tensor_operation12element_wise11PassThroughES9_S9_LNS7_6device18GemmSpecializationE0ELi128ELi16ELi128ELi128ELi8ELi32ELi16ELi16ELi1ELi4ENS_8SequenceIJLi16ELi8ELi1EEEENSC_IJLi1ELi0ELi2EEEESE_Li2ELi8ELi8ELb0ELi0ENSC_IJLi4ELi32ELi1EEEESE_SE_Li2ELi32ELi32ELb0ELi0ELi1ELi1ENSC_IJLi1ELi16ELi1ELi8EEEELi4ELNS_26BlockGemmPipelineSchedulerE1ELNS_24BlockGemmPipelineVersionE1EDF16_DF16_Lb0ELb1ELb0ELi0ELb0EEELb1ELNS_25InMemoryDataOperationEnumE0ELi2ELNS_10TailNumberE2EEEvNT_8ArgumentE.private_seg_size, 0
	.set _ZN2ck27kernel_gemm_xdl_cshuffle_v3INS_28GridwiseGemm_xdl_cshuffle_v3INS_13tensor_layout4gemm8RowMajorENS3_11ColumnMajorES4_DF16_NS_7pk_i4_tEfDF16_DF16_NS_16tensor_operation12element_wise11PassThroughES9_S9_LNS7_6device18GemmSpecializationE0ELi128ELi16ELi128ELi128ELi8ELi32ELi16ELi16ELi1ELi4ENS_8SequenceIJLi16ELi8ELi1EEEENSC_IJLi1ELi0ELi2EEEESE_Li2ELi8ELi8ELb0ELi0ENSC_IJLi4ELi32ELi1EEEESE_SE_Li2ELi32ELi32ELb0ELi0ELi1ELi1ENSC_IJLi1ELi16ELi1ELi8EEEELi4ELNS_26BlockGemmPipelineSchedulerE1ELNS_24BlockGemmPipelineVersionE1EDF16_DF16_Lb0ELb1ELb0ELi0ELb0EEELb1ELNS_25InMemoryDataOperationEnumE0ELi2ELNS_10TailNumberE2EEEvNT_8ArgumentE.uses_vcc, 1
	.set _ZN2ck27kernel_gemm_xdl_cshuffle_v3INS_28GridwiseGemm_xdl_cshuffle_v3INS_13tensor_layout4gemm8RowMajorENS3_11ColumnMajorES4_DF16_NS_7pk_i4_tEfDF16_DF16_NS_16tensor_operation12element_wise11PassThroughES9_S9_LNS7_6device18GemmSpecializationE0ELi128ELi16ELi128ELi128ELi8ELi32ELi16ELi16ELi1ELi4ENS_8SequenceIJLi16ELi8ELi1EEEENSC_IJLi1ELi0ELi2EEEESE_Li2ELi8ELi8ELb0ELi0ENSC_IJLi4ELi32ELi1EEEESE_SE_Li2ELi32ELi32ELb0ELi0ELi1ELi1ENSC_IJLi1ELi16ELi1ELi8EEEELi4ELNS_26BlockGemmPipelineSchedulerE1ELNS_24BlockGemmPipelineVersionE1EDF16_DF16_Lb0ELb1ELb0ELi0ELb0EEELb1ELNS_25InMemoryDataOperationEnumE0ELi2ELNS_10TailNumberE2EEEvNT_8ArgumentE.uses_flat_scratch, 0
	.set _ZN2ck27kernel_gemm_xdl_cshuffle_v3INS_28GridwiseGemm_xdl_cshuffle_v3INS_13tensor_layout4gemm8RowMajorENS3_11ColumnMajorES4_DF16_NS_7pk_i4_tEfDF16_DF16_NS_16tensor_operation12element_wise11PassThroughES9_S9_LNS7_6device18GemmSpecializationE0ELi128ELi16ELi128ELi128ELi8ELi32ELi16ELi16ELi1ELi4ENS_8SequenceIJLi16ELi8ELi1EEEENSC_IJLi1ELi0ELi2EEEESE_Li2ELi8ELi8ELb0ELi0ENSC_IJLi4ELi32ELi1EEEESE_SE_Li2ELi32ELi32ELb0ELi0ELi1ELi1ENSC_IJLi1ELi16ELi1ELi8EEEELi4ELNS_26BlockGemmPipelineSchedulerE1ELNS_24BlockGemmPipelineVersionE1EDF16_DF16_Lb0ELb1ELb0ELi0ELb0EEELb1ELNS_25InMemoryDataOperationEnumE0ELi2ELNS_10TailNumberE2EEEvNT_8ArgumentE.has_dyn_sized_stack, 0
	.set _ZN2ck27kernel_gemm_xdl_cshuffle_v3INS_28GridwiseGemm_xdl_cshuffle_v3INS_13tensor_layout4gemm8RowMajorENS3_11ColumnMajorES4_DF16_NS_7pk_i4_tEfDF16_DF16_NS_16tensor_operation12element_wise11PassThroughES9_S9_LNS7_6device18GemmSpecializationE0ELi128ELi16ELi128ELi128ELi8ELi32ELi16ELi16ELi1ELi4ENS_8SequenceIJLi16ELi8ELi1EEEENSC_IJLi1ELi0ELi2EEEESE_Li2ELi8ELi8ELb0ELi0ENSC_IJLi4ELi32ELi1EEEESE_SE_Li2ELi32ELi32ELb0ELi0ELi1ELi1ENSC_IJLi1ELi16ELi1ELi8EEEELi4ELNS_26BlockGemmPipelineSchedulerE1ELNS_24BlockGemmPipelineVersionE1EDF16_DF16_Lb0ELb1ELb0ELi0ELb0EEELb1ELNS_25InMemoryDataOperationEnumE0ELi2ELNS_10TailNumberE2EEEvNT_8ArgumentE.has_recursion, 0
	.set _ZN2ck27kernel_gemm_xdl_cshuffle_v3INS_28GridwiseGemm_xdl_cshuffle_v3INS_13tensor_layout4gemm8RowMajorENS3_11ColumnMajorES4_DF16_NS_7pk_i4_tEfDF16_DF16_NS_16tensor_operation12element_wise11PassThroughES9_S9_LNS7_6device18GemmSpecializationE0ELi128ELi16ELi128ELi128ELi8ELi32ELi16ELi16ELi1ELi4ENS_8SequenceIJLi16ELi8ELi1EEEENSC_IJLi1ELi0ELi2EEEESE_Li2ELi8ELi8ELb0ELi0ENSC_IJLi4ELi32ELi1EEEESE_SE_Li2ELi32ELi32ELb0ELi0ELi1ELi1ENSC_IJLi1ELi16ELi1ELi8EEEELi4ELNS_26BlockGemmPipelineSchedulerE1ELNS_24BlockGemmPipelineVersionE1EDF16_DF16_Lb0ELb1ELb0ELi0ELb0EEELb1ELNS_25InMemoryDataOperationEnumE0ELi2ELNS_10TailNumberE2EEEvNT_8ArgumentE.has_indirect_call, 0
	.section	.AMDGPU.csdata,"",@progbits
; Kernel info:
; codeLenInByte = 10276
; TotalNumSgprs: 36
; NumVgprs: 164
; NumAgprs: 0
; TotalNumVgprs: 164
; ScratchSize: 0
; MemoryBound: 0
; FloatMode: 240
; IeeeMode: 1
; LDSByteSize: 12288 bytes/workgroup (compile time only)
; SGPRBlocks: 10
; VGPRBlocks: 20
; NumSGPRsForWavesPerEU: 81
; NumVGPRsForWavesPerEU: 164
; AccumOffset: 164
; Occupancy: 3
; WaveLimiterHint : 0
; COMPUTE_PGM_RSRC2:SCRATCH_EN: 0
; COMPUTE_PGM_RSRC2:USER_SGPR: 2
; COMPUTE_PGM_RSRC2:TRAP_HANDLER: 0
; COMPUTE_PGM_RSRC2:TGID_X_EN: 1
; COMPUTE_PGM_RSRC2:TGID_Y_EN: 0
; COMPUTE_PGM_RSRC2:TGID_Z_EN: 1
; COMPUTE_PGM_RSRC2:TIDIG_COMP_CNT: 0
; COMPUTE_PGM_RSRC3_GFX90A:ACCUM_OFFSET: 40
; COMPUTE_PGM_RSRC3_GFX90A:TG_SPLIT: 0
	.section	.text._ZN2ck27kernel_gemm_xdl_cshuffle_v3INS_28GridwiseGemm_xdl_cshuffle_v3INS_13tensor_layout4gemm8RowMajorENS3_11ColumnMajorES4_DF16_NS_7pk_i4_tEfDF16_DF16_NS_16tensor_operation12element_wise11PassThroughES9_S9_LNS7_6device18GemmSpecializationE0ELi128ELi16ELi128ELi128ELi8ELi32ELi16ELi16ELi1ELi4ENS_8SequenceIJLi16ELi8ELi1EEEENSC_IJLi1ELi0ELi2EEEESE_Li2ELi8ELi8ELb0ELi0ENSC_IJLi4ELi32ELi1EEEESE_SE_Li2ELi32ELi32ELb0ELi0ELi1ELi1ENSC_IJLi1ELi16ELi1ELi8EEEELi4ELNS_26BlockGemmPipelineSchedulerE1ELNS_24BlockGemmPipelineVersionE1EDF16_DF16_Lb0ELb1ELb0ELi0ELb0EEELb1ELNS_25InMemoryDataOperationEnumE0ELi2ELNS_10TailNumberE10EEEvNT_8ArgumentE,"axG",@progbits,_ZN2ck27kernel_gemm_xdl_cshuffle_v3INS_28GridwiseGemm_xdl_cshuffle_v3INS_13tensor_layout4gemm8RowMajorENS3_11ColumnMajorES4_DF16_NS_7pk_i4_tEfDF16_DF16_NS_16tensor_operation12element_wise11PassThroughES9_S9_LNS7_6device18GemmSpecializationE0ELi128ELi16ELi128ELi128ELi8ELi32ELi16ELi16ELi1ELi4ENS_8SequenceIJLi16ELi8ELi1EEEENSC_IJLi1ELi0ELi2EEEESE_Li2ELi8ELi8ELb0ELi0ENSC_IJLi4ELi32ELi1EEEESE_SE_Li2ELi32ELi32ELb0ELi0ELi1ELi1ENSC_IJLi1ELi16ELi1ELi8EEEELi4ELNS_26BlockGemmPipelineSchedulerE1ELNS_24BlockGemmPipelineVersionE1EDF16_DF16_Lb0ELb1ELb0ELi0ELb0EEELb1ELNS_25InMemoryDataOperationEnumE0ELi2ELNS_10TailNumberE10EEEvNT_8ArgumentE,comdat
	.protected	_ZN2ck27kernel_gemm_xdl_cshuffle_v3INS_28GridwiseGemm_xdl_cshuffle_v3INS_13tensor_layout4gemm8RowMajorENS3_11ColumnMajorES4_DF16_NS_7pk_i4_tEfDF16_DF16_NS_16tensor_operation12element_wise11PassThroughES9_S9_LNS7_6device18GemmSpecializationE0ELi128ELi16ELi128ELi128ELi8ELi32ELi16ELi16ELi1ELi4ENS_8SequenceIJLi16ELi8ELi1EEEENSC_IJLi1ELi0ELi2EEEESE_Li2ELi8ELi8ELb0ELi0ENSC_IJLi4ELi32ELi1EEEESE_SE_Li2ELi32ELi32ELb0ELi0ELi1ELi1ENSC_IJLi1ELi16ELi1ELi8EEEELi4ELNS_26BlockGemmPipelineSchedulerE1ELNS_24BlockGemmPipelineVersionE1EDF16_DF16_Lb0ELb1ELb0ELi0ELb0EEELb1ELNS_25InMemoryDataOperationEnumE0ELi2ELNS_10TailNumberE10EEEvNT_8ArgumentE ; -- Begin function _ZN2ck27kernel_gemm_xdl_cshuffle_v3INS_28GridwiseGemm_xdl_cshuffle_v3INS_13tensor_layout4gemm8RowMajorENS3_11ColumnMajorES4_DF16_NS_7pk_i4_tEfDF16_DF16_NS_16tensor_operation12element_wise11PassThroughES9_S9_LNS7_6device18GemmSpecializationE0ELi128ELi16ELi128ELi128ELi8ELi32ELi16ELi16ELi1ELi4ENS_8SequenceIJLi16ELi8ELi1EEEENSC_IJLi1ELi0ELi2EEEESE_Li2ELi8ELi8ELb0ELi0ENSC_IJLi4ELi32ELi1EEEESE_SE_Li2ELi32ELi32ELb0ELi0ELi1ELi1ENSC_IJLi1ELi16ELi1ELi8EEEELi4ELNS_26BlockGemmPipelineSchedulerE1ELNS_24BlockGemmPipelineVersionE1EDF16_DF16_Lb0ELb1ELb0ELi0ELb0EEELb1ELNS_25InMemoryDataOperationEnumE0ELi2ELNS_10TailNumberE10EEEvNT_8ArgumentE
	.globl	_ZN2ck27kernel_gemm_xdl_cshuffle_v3INS_28GridwiseGemm_xdl_cshuffle_v3INS_13tensor_layout4gemm8RowMajorENS3_11ColumnMajorES4_DF16_NS_7pk_i4_tEfDF16_DF16_NS_16tensor_operation12element_wise11PassThroughES9_S9_LNS7_6device18GemmSpecializationE0ELi128ELi16ELi128ELi128ELi8ELi32ELi16ELi16ELi1ELi4ENS_8SequenceIJLi16ELi8ELi1EEEENSC_IJLi1ELi0ELi2EEEESE_Li2ELi8ELi8ELb0ELi0ENSC_IJLi4ELi32ELi1EEEESE_SE_Li2ELi32ELi32ELb0ELi0ELi1ELi1ENSC_IJLi1ELi16ELi1ELi8EEEELi4ELNS_26BlockGemmPipelineSchedulerE1ELNS_24BlockGemmPipelineVersionE1EDF16_DF16_Lb0ELb1ELb0ELi0ELb0EEELb1ELNS_25InMemoryDataOperationEnumE0ELi2ELNS_10TailNumberE10EEEvNT_8ArgumentE
	.p2align	8
	.type	_ZN2ck27kernel_gemm_xdl_cshuffle_v3INS_28GridwiseGemm_xdl_cshuffle_v3INS_13tensor_layout4gemm8RowMajorENS3_11ColumnMajorES4_DF16_NS_7pk_i4_tEfDF16_DF16_NS_16tensor_operation12element_wise11PassThroughES9_S9_LNS7_6device18GemmSpecializationE0ELi128ELi16ELi128ELi128ELi8ELi32ELi16ELi16ELi1ELi4ENS_8SequenceIJLi16ELi8ELi1EEEENSC_IJLi1ELi0ELi2EEEESE_Li2ELi8ELi8ELb0ELi0ENSC_IJLi4ELi32ELi1EEEESE_SE_Li2ELi32ELi32ELb0ELi0ELi1ELi1ENSC_IJLi1ELi16ELi1ELi8EEEELi4ELNS_26BlockGemmPipelineSchedulerE1ELNS_24BlockGemmPipelineVersionE1EDF16_DF16_Lb0ELb1ELb0ELi0ELb0EEELb1ELNS_25InMemoryDataOperationEnumE0ELi2ELNS_10TailNumberE10EEEvNT_8ArgumentE,@function
_ZN2ck27kernel_gemm_xdl_cshuffle_v3INS_28GridwiseGemm_xdl_cshuffle_v3INS_13tensor_layout4gemm8RowMajorENS3_11ColumnMajorES4_DF16_NS_7pk_i4_tEfDF16_DF16_NS_16tensor_operation12element_wise11PassThroughES9_S9_LNS7_6device18GemmSpecializationE0ELi128ELi16ELi128ELi128ELi8ELi32ELi16ELi16ELi1ELi4ENS_8SequenceIJLi16ELi8ELi1EEEENSC_IJLi1ELi0ELi2EEEESE_Li2ELi8ELi8ELb0ELi0ENSC_IJLi4ELi32ELi1EEEESE_SE_Li2ELi32ELi32ELb0ELi0ELi1ELi1ENSC_IJLi1ELi16ELi1ELi8EEEELi4ELNS_26BlockGemmPipelineSchedulerE1ELNS_24BlockGemmPipelineVersionE1EDF16_DF16_Lb0ELb1ELb0ELi0ELb0EEELb1ELNS_25InMemoryDataOperationEnumE0ELi2ELNS_10TailNumberE10EEEvNT_8ArgumentE: ; @_ZN2ck27kernel_gemm_xdl_cshuffle_v3INS_28GridwiseGemm_xdl_cshuffle_v3INS_13tensor_layout4gemm8RowMajorENS3_11ColumnMajorES4_DF16_NS_7pk_i4_tEfDF16_DF16_NS_16tensor_operation12element_wise11PassThroughES9_S9_LNS7_6device18GemmSpecializationE0ELi128ELi16ELi128ELi128ELi8ELi32ELi16ELi16ELi1ELi4ENS_8SequenceIJLi16ELi8ELi1EEEENSC_IJLi1ELi0ELi2EEEESE_Li2ELi8ELi8ELb0ELi0ENSC_IJLi4ELi32ELi1EEEESE_SE_Li2ELi32ELi32ELb0ELi0ELi1ELi1ENSC_IJLi1ELi16ELi1ELi8EEEELi4ELNS_26BlockGemmPipelineSchedulerE1ELNS_24BlockGemmPipelineVersionE1EDF16_DF16_Lb0ELb1ELb0ELi0ELb0EEELb1ELNS_25InMemoryDataOperationEnumE0ELi2ELNS_10TailNumberE10EEEvNT_8ArgumentE
; %bb.0:
	s_load_dwordx8 s[4:11], s[0:1], 0x10
	s_load_dwordx2 s[16:17], s[0:1], 0x60
	s_waitcnt lgkmcnt(0)
	s_load_dword s11, s[0:1], 0x68
	s_load_dword s22, s[0:1], 0x3c
	s_load_dwordx4 s[12:15], s[0:1], 0x50
	s_cmp_gt_i32 s10, 1
	s_cselect_b64 s[18:19], -1, 0
	s_waitcnt lgkmcnt(0)
	s_bitcmp1_b32 s11, 0
	s_cselect_b64 s[20:21], -1, 0
	s_and_b64 s[18:19], s[18:19], s[20:21]
	s_andn2_b64 vcc, exec, s[18:19]
	s_mov_b64 s[18:19], 0
	s_cbranch_vccnz .LBB4_2
; %bb.1:
	s_mul_i32 s11, s4, s3
	s_mul_i32 s18, s11, s5
	s_ashr_i32 s19, s18, 31
.LBB4_2:
	s_load_dword s23, s[0:1], 0x34
	s_add_i32 s20, s4, -1
	s_cmp_lt_u32 s20, 16
	s_mov_b32 s21, 0
	s_cbranch_scc1 .LBB4_6
; %bb.3:
	s_add_i32 s0, s5, -1
	s_cmpk_lt_u32 s0, 0x80
	s_mov_b32 s0, 0
	s_cbranch_scc1 .LBB4_10
; %bb.4:
	s_add_i32 s0, s4, 15
	s_ashr_i32 s1, s0, 31
	s_lshr_b32 s1, s1, 28
	s_add_i32 s0, s0, s1
	s_ashr_i32 s24, s0, 4
	s_add_i32 s0, s5, 0x7f
	s_ashr_i32 s1, s0, 31
	s_lshr_b32 s1, s1, 25
	s_add_i32 s0, s0, s1
	s_ashr_i32 s11, s0, 7
	s_mul_i32 s0, s11, s24
	s_add_i32 s1, s0, 7
	s_ashr_i32 s25, s1, 31
	s_lshr_b32 s25, s25, 29
	s_add_i32 s1, s1, s25
	s_ashr_i32 s25, s1, 3
	s_and_b32 s1, s1, -8
	s_sub_i32 s26, s0, s1
	s_ashr_i32 s0, s2, 31
	s_lshr_b32 s0, s0, 29
	s_add_i32 s28, s2, s0
	s_and_b32 s0, s28, -8
	s_add_i32 s26, s26, 8
	s_sub_i32 s27, s2, s0
	s_cmp_gt_i32 s27, s26
	s_cbranch_scc1 .LBB4_7
; %bb.5:
	s_mul_i32 s2, s25, s27
	s_ashr_i32 s0, s28, 3
	s_cbranch_execz .LBB4_8
	s_branch .LBB4_9
.LBB4_6:
	s_mov_b32 s11, 0
	s_branch .LBB4_11
.LBB4_7:
                                        ; implicit-def: $sgpr2
	s_ashr_i32 s0, s28, 3
.LBB4_8:
	s_add_i32 s1, s25, -1
	s_mul_i32 s1, s1, s27
	s_add_i32 s2, s26, s1
.LBB4_9:
	s_abs_i32 s1, s11
	v_cvt_f32_u32_e32 v1, s1
	s_sub_i32 s26, 0, s1
	s_add_i32 s0, s2, s0
	s_abs_i32 s25, s0
	v_rcp_iflag_f32_e32 v1, v1
	s_xor_b32 s2, s0, s11
	s_ashr_i32 s2, s2, 31
	v_mul_f32_e32 v1, 0x4f7ffffe, v1
	v_cvt_u32_f32_e32 v1, v1
	s_nop 0
	v_readfirstlane_b32 s27, v1
	s_mul_i32 s26, s26, s27
	s_mul_hi_u32 s26, s27, s26
	s_add_i32 s27, s27, s26
	s_mul_hi_u32 s26, s25, s27
	s_mul_i32 s27, s26, s1
	s_sub_i32 s25, s25, s27
	s_add_i32 s28, s26, 1
	s_sub_i32 s27, s25, s1
	s_cmp_ge_u32 s25, s1
	s_cselect_b32 s26, s28, s26
	s_cselect_b32 s25, s27, s25
	s_add_i32 s27, s26, 1
	s_cmp_ge_u32 s25, s1
	s_cselect_b32 s1, s27, s26
	s_xor_b32 s1, s1, s2
	s_lshr_b32 s25, s24, 30
	s_sub_i32 s1, s1, s2
	s_add_i32 s25, s24, s25
	s_mul_i32 s2, s1, s11
	s_sub_i32 s0, s0, s2
	s_and_b32 s2, s25, -4
	s_sub_i32 s24, s24, s2
	s_cmp_ge_i32 s1, s2
	s_cselect_b32 s2, s24, 4
	s_abs_i32 s25, s2
	v_cvt_f32_u32_e32 v1, s25
	s_ashr_i32 s24, s1, 31
	s_lshr_b32 s24, s24, 30
	s_add_i32 s24, s1, s24
	v_rcp_iflag_f32_e32 v1, v1
	s_and_b32 s24, s24, -4
	s_sub_i32 s24, s1, s24
	s_sub_i32 s27, 0, s25
	v_mul_f32_e32 v1, 0x4f7ffffe, v1
	v_cvt_u32_f32_e32 v1, v1
	s_mul_i32 s11, s24, s11
	s_add_i32 s11, s11, s0
	s_abs_i32 s26, s11
	v_readfirstlane_b32 s28, v1
	s_mul_i32 s27, s27, s28
	s_mul_hi_u32 s27, s28, s27
	s_add_i32 s28, s28, s27
	s_mul_hi_u32 s27, s26, s28
	s_mul_i32 s28, s27, s25
	s_xor_b32 s0, s11, s2
	s_sub_i32 s26, s26, s28
	s_ashr_i32 s0, s0, 31
	s_add_i32 s28, s27, 1
	s_sub_i32 s29, s26, s25
	s_cmp_ge_u32 s26, s25
	s_cselect_b32 s27, s28, s27
	s_cselect_b32 s26, s29, s26
	s_add_i32 s28, s27, 1
	s_cmp_ge_u32 s26, s25
	s_cselect_b32 s25, s28, s27
	s_xor_b32 s25, s25, s0
	s_sub_i32 s0, s25, s0
	s_mul_i32 s2, s0, s2
	s_sub_i32 s2, s11, s2
	s_add_i32 s2, s2, s1
	s_sub_i32 s2, s2, s24
.LBB4_10:
	s_mov_b32 s11, s2
	s_mov_b32 s2, s0
.LBB4_11:
	s_waitcnt lgkmcnt(0)
	s_mul_i32 s0, s23, s3
	s_mul_i32 s1, s0, s5
	s_lshr_b32 s24, s1, 1
	s_ashr_i32 s1, s0, 31
	s_lshl_b64 s[0:1], s[0:1], 1
	s_add_u32 s0, s12, s0
	s_addc_u32 s1, s13, s1
	s_add_u32 s12, s14, s24
	s_addc_u32 s13, s15, 0
	s_ashr_i32 s15, s8, 31
	s_lshr_b32 s15, s15, 25
	s_add_i32 s10, s10, -1
	s_add_i32 s8, s8, s15
	s_mul_i32 s24, s10, s23
	v_lshrrev_b32_e32 v1, 3, v0
	s_ashr_i32 s15, s8, 7
	s_lshl_b32 s8, s5, 7
	s_sub_i32 s6, s6, s24
	v_and_b32_e32 v34, 14, v1
	s_cmp_lt_u32 s3, s10
	v_lshl_or_b32 v2, s11, 4, v34
	s_mul_i32 s14, s20, s7
	s_cselect_b32 s3, s23, s6
	v_and_b32_e32 v72, 15, v0
	v_mul_lo_u32 v35, v2, s7
	s_lshl_b32 s6, s2, 7
	v_lshl_add_u32 v18, v72, 3, v35
	v_and_b32_e32 v19, 0x7c, v0
	v_and_b32_e32 v36, 3, v0
	s_add_i32 s3, s3, s14
	v_or_b32_e32 v2, s6, v19
	v_lshlrev_b32_e32 v3, 5, v36
	s_lshl_b32 s2, s3, 1
	s_and_b32 s1, s1, 0xffff
	s_mov_b32 s3, 0x20000
	v_lshlrev_b32_e32 v10, 1, v18
	v_lshl_or_b32 v20, v2, 7, v3
	v_add_lshl_u32 v11, v18, s7, 1
	buffer_load_dwordx4 v[2:5], v10, s[0:3], 0 offen
	buffer_load_dwordx4 v[6:9], v11, s[0:3], 0 offen
	s_mul_i32 s10, s5, s15
	v_ashrrev_i32_e32 v21, 1, v20
	s_lshl_b32 s14, s10, 6
	s_and_b32 s13, s13, 0xffff
	s_mov_b32 s15, s3
	buffer_load_dwordx4 v[10:13], v21, s[12:15], 0 offen
	buffer_load_dwordx4 v[14:17], v21, s[12:15], 0 offen offset:64
	buffer_load_dwordx4 v[26:29], v21, s[12:15], 0 offen offset:128
	v_or_b32_e32 v20, 0x180, v20
	v_ashrrev_i32_e32 v23, 1, v20
	buffer_load_dwordx4 v[30:33], v23, s[12:15], 0 offen
	v_lshlrev_b32_e32 v21, 1, v0
	v_lshrrev_b32_e32 v22, 2, v0
	v_and_b32_e32 v21, 0x60, v21
	v_and_b32_e32 v73, 16, v22
	;; [unrolled: 1-line block ×3, first 2 shown]
	v_bitop3_b32 v82, v1, v72, 14 bitop3:0x6c
	v_lshlrev_b32_e32 v22, 7, v34
	v_lshrrev_b32_e32 v41, 3, v21
	v_or_b32_e32 v24, v73, v72
	v_lshrrev_b32_e32 v42, 4, v21
	v_bitop3_b32 v21, v34, v72, 1 bitop3:0x36
	v_lshrrev_b32_e32 v38, 1, v19
	v_lshlrev_b32_e32 v39, 1, v36
	v_lshl_or_b32 v22, v82, 3, v22
	v_lshrrev_b32_e32 v24, 1, v24
	v_or_b32_e32 v25, v42, v37
	v_sub_u32_e32 v44, v21, v82
	v_sub_u32_e32 v21, v82, v21
	v_lshlrev_b32_e32 v19, 7, v19
	v_and_b32_e32 v23, 6, v38
	v_bitop3_b32 v40, v38, v39, 6 bitop3:0x6c
	v_bitop3_b32 v45, v24, v25, 7 bitop3:0x6c
	v_lshlrev_b32_e32 v25, 1, v22
	v_lshlrev_b32_e32 v46, 3, v44
	;; [unrolled: 1-line block ×3, first 2 shown]
	v_lshl_or_b32 v19, v40, 5, v19
	v_add3_u32 v62, v46, v22, v21
	v_lshl_add_u32 v21, v44, 4, v25
	v_bitop3_b32 v44, v39, v23, 1 bitop3:0x36
	v_lshrrev_b32_e32 v47, 1, v19
	s_add_i32 s25, s8, 0xfffffe80
	v_add_u32_e32 v22, s25, v20
	v_lshlrev_b32_e32 v24, 8, v24
	v_add_u32_e32 v18, 0x80, v18
	v_add_u32_e32 v52, s8, v20
	v_lshl_or_b32 v48, v45, 5, v24
	v_lshlrev_b32_e32 v49, 1, v18
	v_add_lshl_u32 v50, v18, s7, 1
	v_ashrrev_i32_e32 v53, 1, v52
	v_bitop3_b32 v43, v41, v0, 15 bitop3:0x78
	s_ashr_i32 s10, s22, 31
	v_or_b32_e32 v88, 1, v1
	s_lshr_b32 s10, s10, 28
	s_add_i32 s22, s22, s10
	s_ashr_i32 s10, s22, 4
	v_mov_b32_e32 v60, 2
	v_or_b32_e32 v87, 8, v36
	s_waitcnt vmcnt(5)
	ds_write_b128 v25, v[2:5]
	s_waitcnt vmcnt(4)
	ds_write_b128 v21, v[6:9] offset:256
	s_waitcnt vmcnt(3)
	ds_write_b128 v47, v[10:13] offset:4096
	v_sub_u32_e32 v2, v44, v40
	v_lshlrev_b32_e32 v83, 5, v2
	v_add_u32_e32 v46, v83, v19
	v_ashrrev_i32_e32 v2, 1, v46
	s_waitcnt vmcnt(2)
	ds_write_b128 v2, v[14:17] offset:4096
	v_ashrrev_i32_e32 v10, 1, v22
	v_add_u32_e32 v2, 0x80, v22
	v_ashrrev_i32_e32 v11, 1, v2
	buffer_load_dwordx4 v[2:5], v10, s[12:15], 0 offen
	buffer_load_dwordx4 v[6:9], v11, s[12:15], 0 offen
	v_add_u32_e32 v10, 0x100, v22
	v_ashrrev_i32_e32 v51, 1, v10
	buffer_load_dwordx4 v[10:13], v51, s[12:15], 0 offen
	buffer_load_dwordx4 v[14:17], v53, s[12:15], 0 offen
	buffer_load_dwordx4 v[22:25], v49, s[0:3], 0 offen
	buffer_load_dwordx4 v[18:21], v50, s[0:3], 0 offen
	v_lshrrev_b32_e32 v47, 1, v0
	v_or_b32_e32 v49, 1, v47
	v_sub_u32_e32 v50, v49, v38
	v_bitop3_b32 v51, v49, v39, 7 bitop3:0x6c
	v_sub_u32_e32 v44, v51, v44
	v_lshlrev_b32_e32 v50, 8, v50
	v_lshl_add_u32 v84, v44, 5, v50
	v_add_u32_e32 v44, v84, v46
	v_bitop3_b32 v47, v47, 7, 1 bitop3:0xc8
	v_ashrrev_i32_e32 v46, 1, v44
	s_waitcnt vmcnt(7)
	ds_write_b128 v46, v[26:29] offset:4096
	v_bitop3_b32 v26, v39, v47, 1 bitop3:0x36
	v_sub_u32_e32 v27, v26, v51
	v_lshlrev_b32_e32 v85, 5, v27
	v_add_u32_e32 v27, v44, v85
	v_ashrrev_i32_e32 v28, 1, v27
	s_waitcnt vmcnt(6)
	ds_write_b128 v28, v[30:33] offset:4096
	v_sub_u32_e32 v28, v38, v49
	v_sub_u32_e32 v26, v40, v26
	v_lshlrev_b32_e32 v28, 8, v28
	v_lshl_add_u32 v86, v26, 5, v28
	v_lshlrev_b32_e32 v26, 8, v72
	v_lshl_or_b32 v77, v43, 4, v26
	v_bitop3_b32 v26, v41, v72, 1 bitop3:0x36
	v_sub_u32_e32 v26, v26, v43
	v_lshl_add_u32 v78, v26, 4, v77
	v_bitop3_b32 v26, v41, v72, 2 bitop3:0x36
	v_sub_u32_e32 v26, v26, v43
	v_lshl_add_u32 v79, v26, 4, v77
	;; [unrolled: 3-line block ×3, first 2 shown]
	v_bfe_u32 v26, v0, 1, 3
	v_bitop3_b32 v26, v42, v26, v37 bitop3:0x36
	v_sub_u32_e32 v26, v26, v45
	v_lshl_add_u32 v26, v26, 5, v48
	v_add_u32_e32 v71, v27, v86
	v_add_u32_e32 v27, 0x1000, v26
	v_lshrrev_b32_e32 v76, 1, v27
	v_add_u32_e32 v27, 0x2000, v26
	v_add_u32_e32 v26, 0x3000, v26
	v_lshrrev_b32_e32 v74, 1, v26
	v_sub_u32_e32 v26, v88, v34
	v_lshrrev_b32_e32 v75, 1, v27
	v_lshlrev_b32_e32 v89, 7, v26
	v_add_u32_e32 v90, -1, v26
	v_add_u32_e32 v26, s7, v35
	v_lshlrev_b32_e32 v27, 4, v72
	v_lshl_add_u32 v98, v26, 1, v27
	v_mov_b32_e32 v26, 0
	v_add_u32_e32 v58, s25, v52
	s_add_i32 s10, s10, -2
	v_lshrrev_b32_e32 v81, 1, v48
	v_lshl_add_u32 v99, v35, 1, v27
	v_mov_b32_e32 v91, 0xf000f
	v_mov_b32_e32 v92, 0x64006400
	;; [unrolled: 1-line block ×22, first 2 shown]
.LBB4_12:                               ; =>This Inner Loop Header: Depth=1
	s_waitcnt lgkmcnt(0)
	s_barrier
	ds_read_b128 v[64:67], v81 offset:4096
	ds_read_b128 v[54:57], v77
	ds_read_b128 v[50:53], v78
	;; [unrolled: 1-line block ×4, first 2 shown]
	s_waitcnt lgkmcnt(4)
	;;#ASMSTART
	v_and_or_b32 v59, v64, v91, v92
	;;#ASMEND
	;;#ASMSTART
	v_and_or_b32 v61, v64, v93, v92
	;;#ASMEND
	s_nop 0
	;;#ASMSTART
	v_pk_add_f16 v100, v59, v94
	;;#ASMEND
	v_ashrrev_i32_e32 v59, 8, v64
	;;#ASMSTART
	v_pk_fma_f16 v101, v61, v95, v96
	;;#ASMEND
	;;#ASMSTART
	v_and_or_b32 v61, v59, v91, v92
	;;#ASMEND
	;;#ASMSTART
	v_and_or_b32 v59, v59, v93, v92
	;;#ASMEND
	s_nop 0
	;;#ASMSTART
	v_pk_add_f16 v102, v61, v94
	;;#ASMEND
	;;#ASMSTART
	v_pk_fma_f16 v103, v59, v95, v96
	;;#ASMEND
	;;#ASMSTART
	v_and_or_b32 v59, v65, v91, v92
	;;#ASMEND
	;;#ASMSTART
	v_and_or_b32 v61, v65, v93, v92
	;;#ASMEND
	s_nop 0
	;;#ASMSTART
	v_pk_add_f16 v104, v59, v94
	;;#ASMEND
	v_ashrrev_i32_e32 v59, 8, v65
	;;#ASMSTART
	v_pk_fma_f16 v105, v61, v95, v96
	;;#ASMEND
	;;#ASMSTART
	v_and_or_b32 v61, v59, v91, v92
	;;#ASMEND
	;;#ASMSTART
	v_and_or_b32 v59, v59, v93, v92
	;;#ASMEND
	s_nop 0
	;;#ASMSTART
	v_pk_add_f16 v106, v61, v94
	;;#ASMEND
	;;#ASMSTART
	v_pk_fma_f16 v107, v59, v95, v96
	;;#ASMEND
	;; [unrolled: 27-line block ×4, first 2 shown]
	ds_read_b128 v[112:115], v76 offset:4096
	s_waitcnt lgkmcnt(0)
	;;#ASMSTART
	v_and_or_b32 v59, v112, v91, v92
	;;#ASMEND
	;;#ASMSTART
	v_and_or_b32 v61, v112, v93, v92
	;;#ASMEND
	s_nop 0
	;;#ASMSTART
	v_pk_add_f16 v116, v59, v94
	;;#ASMEND
	v_ashrrev_i32_e32 v59, 8, v112
	;;#ASMSTART
	v_pk_fma_f16 v117, v61, v95, v96
	;;#ASMEND
	;;#ASMSTART
	v_and_or_b32 v61, v59, v91, v92
	;;#ASMEND
	;;#ASMSTART
	v_and_or_b32 v59, v59, v93, v92
	;;#ASMEND
	s_nop 0
	;;#ASMSTART
	v_pk_add_f16 v118, v61, v94
	;;#ASMEND
	;;#ASMSTART
	v_pk_fma_f16 v119, v59, v95, v96
	;;#ASMEND
	;;#ASMSTART
	v_and_or_b32 v59, v113, v91, v92
	;;#ASMEND
	;;#ASMSTART
	v_and_or_b32 v61, v113, v93, v92
	;;#ASMEND
	s_nop 0
	;;#ASMSTART
	v_pk_add_f16 v120, v59, v94
	;;#ASMEND
	v_ashrrev_i32_e32 v59, 8, v113
	;;#ASMSTART
	v_pk_fma_f16 v121, v61, v95, v96
	;;#ASMEND
	;;#ASMSTART
	v_and_or_b32 v61, v59, v91, v92
	;;#ASMEND
	;;#ASMSTART
	v_and_or_b32 v59, v59, v93, v92
	;;#ASMEND
	s_nop 0
	;;#ASMSTART
	v_pk_add_f16 v122, v61, v94
	;;#ASMEND
	;;#ASMSTART
	v_pk_fma_f16 v123, v59, v95, v96
	;;#ASMEND
	;; [unrolled: 27-line block ×4, first 2 shown]
	ds_read_b128 v[128:131], v75 offset:4096
	s_waitcnt lgkmcnt(0)
	;;#ASMSTART
	v_and_or_b32 v59, v128, v91, v92
	;;#ASMEND
	;;#ASMSTART
	v_and_or_b32 v61, v128, v93, v92
	;;#ASMEND
	s_nop 0
	;;#ASMSTART
	v_pk_add_f16 v132, v59, v94
	;;#ASMEND
	v_ashrrev_i32_e32 v59, 8, v128
	;;#ASMSTART
	v_pk_fma_f16 v133, v61, v95, v96
	;;#ASMEND
	;;#ASMSTART
	v_and_or_b32 v61, v59, v91, v92
	;;#ASMEND
	;;#ASMSTART
	v_and_or_b32 v59, v59, v93, v92
	;;#ASMEND
	s_nop 0
	;;#ASMSTART
	v_pk_add_f16 v134, v61, v94
	;;#ASMEND
	;;#ASMSTART
	v_pk_fma_f16 v135, v59, v95, v96
	;;#ASMEND
	;;#ASMSTART
	v_and_or_b32 v59, v129, v91, v92
	;;#ASMEND
	;;#ASMSTART
	v_and_or_b32 v61, v129, v93, v92
	;;#ASMEND
	s_nop 0
	;;#ASMSTART
	v_pk_add_f16 v136, v59, v94
	;;#ASMEND
	v_ashrrev_i32_e32 v59, 8, v129
	;;#ASMSTART
	v_pk_fma_f16 v137, v61, v95, v96
	;;#ASMEND
	;;#ASMSTART
	v_and_or_b32 v61, v59, v91, v92
	;;#ASMEND
	;;#ASMSTART
	v_and_or_b32 v59, v59, v93, v92
	;;#ASMEND
	s_nop 0
	;;#ASMSTART
	v_pk_add_f16 v138, v61, v94
	;;#ASMEND
	;;#ASMSTART
	v_pk_fma_f16 v139, v59, v95, v96
	;;#ASMEND
	;; [unrolled: 27-line block ×4, first 2 shown]
	ds_read_b128 v[144:147], v74 offset:4096
	s_waitcnt lgkmcnt(0)
	;;#ASMSTART
	v_and_or_b32 v59, v144, v91, v92
	;;#ASMEND
	;;#ASMSTART
	v_and_or_b32 v61, v144, v93, v92
	;;#ASMEND
	s_nop 0
	;;#ASMSTART
	v_pk_add_f16 v148, v59, v94
	;;#ASMEND
	v_ashrrev_i32_e32 v59, 8, v144
	;;#ASMSTART
	v_pk_fma_f16 v149, v61, v95, v96
	;;#ASMEND
	;;#ASMSTART
	v_and_or_b32 v61, v59, v91, v92
	;;#ASMEND
	;;#ASMSTART
	v_and_or_b32 v59, v59, v93, v92
	;;#ASMEND
	s_nop 0
	;;#ASMSTART
	v_pk_add_f16 v150, v61, v94
	;;#ASMEND
	;;#ASMSTART
	v_pk_fma_f16 v151, v59, v95, v96
	;;#ASMEND
	;;#ASMSTART
	v_and_or_b32 v59, v145, v91, v92
	;;#ASMEND
	;;#ASMSTART
	v_and_or_b32 v61, v145, v93, v92
	;;#ASMEND
	s_nop 0
	;;#ASMSTART
	v_pk_add_f16 v152, v59, v94
	;;#ASMEND
	v_ashrrev_i32_e32 v59, 8, v145
	;;#ASMSTART
	v_pk_fma_f16 v153, v61, v95, v96
	;;#ASMEND
	;;#ASMSTART
	v_and_or_b32 v61, v59, v91, v92
	;;#ASMEND
	;;#ASMSTART
	v_and_or_b32 v59, v59, v93, v92
	;;#ASMEND
	s_nop 0
	;;#ASMSTART
	v_pk_add_f16 v154, v61, v94
	;;#ASMEND
	;;#ASMSTART
	v_pk_fma_f16 v155, v59, v95, v96
	;;#ASMEND
	;; [unrolled: 27-line block ×4, first 2 shown]
	; sched_barrier mask(0x00000000)
	s_barrier
	; sched_barrier mask(0x00000000)
	v_mfma_f32_16x16x32_f16 v[38:41], v[54:57], v[100:103], v[38:41]
	v_mfma_f32_16x16x32_f16 v[38:41], v[50:53], v[104:107], v[38:41]
	;; [unrolled: 1-line block ×4, first 2 shown]
	; sched_barrier mask(0x00000000)
	s_setprio 1
	; sched_barrier mask(0x00000000)
	v_mfma_f32_16x16x32_f16 v[34:37], v[54:57], v[116:119], v[34:37]
	v_mfma_f32_16x16x32_f16 v[30:33], v[54:57], v[132:135], v[30:33]
	;; [unrolled: 1-line block ×8, first 2 shown]
	; sched_barrier mask(0x00000000)
	s_waitcnt lgkmcnt(0)
	s_barrier
	; sched_barrier mask(0x00000000)
	v_mfma_f32_16x16x32_f16 v[26:29], v[54:57], v[148:151], v[26:29]
	v_mfma_f32_16x16x32_f16 v[26:29], v[50:53], v[152:155], v[26:29]
	;; [unrolled: 1-line block ×4, first 2 shown]
	; sched_barrier mask(0x00000000)
	s_setprio 0
	; sched_barrier mask(0x00000000)
	v_lshlrev_b32_e32 v50, 1, v62
	v_ashrrev_i32_e32 v51, 31, v88
	v_add_u32_e32 v63, -1, v88
	v_lshrrev_b32_e32 v52, 31, v71
	v_add_u32_e32 v53, v71, v83
	v_add_u32_e32 v55, 0x80, v58
	buffer_load_dwordx4 v[46:49], v99, s[0:3], 0 offen offset:512
	buffer_load_dwordx4 v[42:45], v98, s[0:3], 0 offen offset:512
	v_lshrrev_b32_e32 v54, 31, v58
	v_add_u32_e32 v56, 0x100, v58
	v_add_u32_e32 v57, 0x180, v58
	v_add_u32_e64 v106, 3, s21
	s_waitcnt vmcnt(3)
	ds_write_b128 v50, v[22:25]
	v_lshrrev_b32_e32 v22, 28, v51
	v_ashrrev_i32_e32 v23, 31, v63
	v_add_u32_e32 v24, v71, v52
	v_lshrrev_b32_e32 v25, 31, v53
	v_add_u32_e32 v50, v53, v84
	v_lshrrev_b32_e32 v52, 31, v55
	;; [unrolled: 2-line block ×3, first 2 shown]
	v_lshrrev_b32_e32 v59, 31, v57
	v_sub_u32_e32 v60, v106, v60
	v_add_u32_e32 v22, v88, v22
	v_lshrrev_b32_e32 v23, 28, v23
	v_ashrrev_i32_e32 v64, 1, v24
	v_add_u32_e32 v24, v53, v25
	v_lshrrev_b32_e32 v25, 31, v50
	v_add_u32_e32 v53, v50, v85
	v_add_u32_e32 v52, v55, v52
	v_ashrrev_i32_e32 v51, 1, v51
	v_add_u32_e32 v54, v56, v54
	v_add_u32_e32 v55, v57, v59
	v_mad_u64_u32 v[70:71], s[22:23], v60, s8, v[58:59]
	v_and_b32_e32 v56, -16, v22
	v_add_u32_e32 v57, v63, v23
	v_add_u32_e32 v50, v50, v25
	v_lshrrev_b32_e32 v58, 31, v53
	v_ashrrev_i32_e32 v65, 1, v52
	v_ashrrev_i32_e32 v100, 1, v24
	v_add_u32_e32 v71, v53, v86
	buffer_load_dwordx4 v[22:25], v51, s[12:15], 0 offen
	v_ashrrev_i32_e32 v66, 1, v54
	v_ashrrev_i32_e32 v67, 1, v55
	v_sub_u32_e32 v68, v88, v56
	v_and_b32_e32 v69, -16, v57
	v_ashrrev_i32_e32 v101, 1, v50
	v_add_u32_e32 v102, v53, v58
	buffer_load_dwordx4 v[50:53], v65, s[12:15], 0 offen
	buffer_load_dwordx4 v[54:57], v66, s[12:15], 0 offen
	;; [unrolled: 1-line block ×3, first 2 shown]
	v_xor_b32_e32 v107, v68, v72
	v_sub_u32_e32 v63, v63, v69
	v_sub_u32_e32 v65, v107, v82
	v_xor_b32_e32 v82, v63, v72
	v_lshlrev_b32_e32 v63, 3, v65
	v_add3_u32 v62, v62, v89, v63
	v_lshlrev_b32_e32 v160, 1, v62
	v_ashrrev_i32_e32 v102, 1, v102
	v_sub_u32_e32 v65, v82, v107
	s_waitcnt vmcnt(6)
	ds_write_b128 v160, v[18:21]
	ds_write_b128 v64, v[2:5] offset:4096
	ds_write_b128 v100, v[6:9] offset:4096
	;; [unrolled: 1-line block ×4, first 2 shown]
	s_waitcnt lgkmcnt(0)
	s_barrier
	ds_read_b128 v[108:111], v81 offset:4096
	ds_read_b128 v[14:17], v77
	ds_read_b128 v[10:13], v78
	;; [unrolled: 1-line block ×4, first 2 shown]
	v_lshl_add_u32 v103, v65, 3, v97
	s_waitcnt lgkmcnt(4)
	;;#ASMSTART
	v_and_or_b32 v18, v108, v91, v92
	;;#ASMEND
	;;#ASMSTART
	v_and_or_b32 v19, v108, v93, v92
	;;#ASMEND
	v_add_u32_e32 v161, v103, v62
	v_ashrrev_i32_e32 v20, 8, v108
	;;#ASMSTART
	v_pk_add_f16 v18, v18, v94
	;;#ASMEND
	;;#ASMSTART
	v_pk_fma_f16 v19, v19, v95, v96
	;;#ASMEND
	;;#ASMSTART
	v_and_or_b32 v21, v20, v91, v92
	;;#ASMEND
	;;#ASMSTART
	v_and_or_b32 v62, v20, v93, v92
	;;#ASMEND
	v_ashrrev_i32_e32 v64, 8, v109
	;;#ASMSTART
	v_pk_add_f16 v20, v21, v94
	;;#ASMEND
	;;#ASMSTART
	v_pk_fma_f16 v21, v62, v95, v96
	;;#ASMEND
	;;#ASMSTART
	v_and_or_b32 v62, v109, v91, v92
	;;#ASMEND
	;;#ASMSTART
	v_and_or_b32 v63, v109, v93, v92
	;;#ASMEND
	;; [unrolled: 13-line block ×4, first 2 shown]
	v_add_u32_e32 v104, 0x200, v99
	;;#ASMSTART
	v_pk_add_f16 v66, v66, v94
	;;#ASMEND
	;;#ASMSTART
	v_pk_fma_f16 v67, v67, v95, v96
	;;#ASMEND
	;;#ASMSTART
	v_and_or_b32 v69, v68, v91, v92
	;;#ASMEND
	;;#ASMSTART
	v_and_or_b32 v108, v68, v93, v92
	;;#ASMEND
	v_add_u32_e32 v105, 0x200, v98
	;;#ASMSTART
	v_pk_add_f16 v68, v69, v94
	;;#ASMEND
	;;#ASMSTART
	v_pk_fma_f16 v69, v108, v95, v96
	;;#ASMEND
	;;#ASMSTART
	v_and_or_b32 v108, v111, v91, v92
	;;#ASMEND
	;;#ASMSTART
	v_and_or_b32 v109, v111, v93, v92
	;;#ASMEND
	s_nop 0
	;;#ASMSTART
	v_pk_add_f16 v108, v108, v94
	;;#ASMEND
	;;#ASMSTART
	v_pk_fma_f16 v109, v109, v95, v96
	;;#ASMEND
	;;#ASMSTART
	v_and_or_b32 v110, v112, v91, v92
	;;#ASMEND
	;;#ASMSTART
	v_and_or_b32 v111, v112, v93, v92
	;;#ASMEND
	s_nop 0
	;;#ASMSTART
	v_pk_add_f16 v110, v110, v94
	;;#ASMEND
	;;#ASMSTART
	v_pk_fma_f16 v111, v111, v95, v96
	;;#ASMEND
	ds_read_b128 v[112:115], v76 offset:4096
	s_waitcnt lgkmcnt(0)
	;;#ASMSTART
	v_and_or_b32 v116, v112, v91, v92
	;;#ASMEND
	;;#ASMSTART
	v_and_or_b32 v117, v112, v93, v92
	;;#ASMEND
	v_ashrrev_i32_e32 v112, 8, v112
	;;#ASMSTART
	v_pk_add_f16 v116, v116, v94
	;;#ASMEND
	;;#ASMSTART
	v_pk_fma_f16 v117, v117, v95, v96
	;;#ASMEND
	;;#ASMSTART
	v_and_or_b32 v118, v112, v91, v92
	;;#ASMEND
	;;#ASMSTART
	v_and_or_b32 v112, v112, v93, v92
	;;#ASMEND
	v_ashrrev_i32_e32 v122, 8, v113
	;;#ASMSTART
	v_pk_add_f16 v118, v118, v94
	;;#ASMEND
	;;#ASMSTART
	v_pk_fma_f16 v119, v112, v95, v96
	;;#ASMEND
	;; [unrolled: 13-line block ×4, first 2 shown]
	;;#ASMSTART
	v_and_or_b32 v112, v114, v91, v92
	;;#ASMEND
	;;#ASMSTART
	v_and_or_b32 v113, v114, v93, v92
	;;#ASMEND
	s_nop 0
	;;#ASMSTART
	v_pk_add_f16 v124, v112, v94
	;;#ASMEND
	;;#ASMSTART
	v_pk_fma_f16 v125, v113, v95, v96
	;;#ASMEND
	;;#ASMSTART
	v_and_or_b32 v112, v126, v91, v92
	;;#ASMEND
	;;#ASMSTART
	v_and_or_b32 v113, v126, v93, v92
	;;#ASMEND
	s_nop 0
	;;#ASMSTART
	v_pk_add_f16 v126, v112, v94
	;;#ASMEND
	;;#ASMSTART
	v_pk_fma_f16 v127, v113, v95, v96
	;;#ASMEND
	;; [unrolled: 13-line block ×4, first 2 shown]
	ds_read_b128 v[128:131], v75 offset:4096
	s_waitcnt lgkmcnt(0)
	;;#ASMSTART
	v_and_or_b32 v132, v128, v91, v92
	;;#ASMEND
	;;#ASMSTART
	v_and_or_b32 v133, v128, v93, v92
	;;#ASMEND
	v_ashrrev_i32_e32 v128, 8, v128
	;;#ASMSTART
	v_pk_add_f16 v132, v132, v94
	;;#ASMEND
	;;#ASMSTART
	v_pk_fma_f16 v133, v133, v95, v96
	;;#ASMEND
	;;#ASMSTART
	v_and_or_b32 v134, v128, v91, v92
	;;#ASMEND
	;;#ASMSTART
	v_and_or_b32 v128, v128, v93, v92
	;;#ASMEND
	v_ashrrev_i32_e32 v138, 8, v129
	;;#ASMSTART
	v_pk_add_f16 v134, v134, v94
	;;#ASMEND
	;;#ASMSTART
	v_pk_fma_f16 v135, v128, v95, v96
	;;#ASMEND
	;; [unrolled: 13-line block ×4, first 2 shown]
	;;#ASMSTART
	v_and_or_b32 v128, v130, v91, v92
	;;#ASMEND
	;;#ASMSTART
	v_and_or_b32 v129, v130, v93, v92
	;;#ASMEND
	s_nop 0
	;;#ASMSTART
	v_pk_add_f16 v140, v128, v94
	;;#ASMEND
	;;#ASMSTART
	v_pk_fma_f16 v141, v129, v95, v96
	;;#ASMEND
	;;#ASMSTART
	v_and_or_b32 v128, v142, v91, v92
	;;#ASMEND
	;;#ASMSTART
	v_and_or_b32 v129, v142, v93, v92
	;;#ASMEND
	s_nop 0
	;;#ASMSTART
	v_pk_add_f16 v142, v128, v94
	;;#ASMEND
	;;#ASMSTART
	v_pk_fma_f16 v143, v129, v95, v96
	;;#ASMEND
	;; [unrolled: 13-line block ×4, first 2 shown]
	ds_read_b128 v[144:147], v74 offset:4096
	s_waitcnt lgkmcnt(0)
	;;#ASMSTART
	v_and_or_b32 v148, v144, v91, v92
	;;#ASMEND
	;;#ASMSTART
	v_and_or_b32 v149, v144, v93, v92
	;;#ASMEND
	v_ashrrev_i32_e32 v144, 8, v144
	;;#ASMSTART
	v_pk_add_f16 v148, v148, v94
	;;#ASMEND
	;;#ASMSTART
	v_pk_fma_f16 v149, v149, v95, v96
	;;#ASMEND
	;;#ASMSTART
	v_and_or_b32 v150, v144, v91, v92
	;;#ASMEND
	;;#ASMSTART
	v_and_or_b32 v144, v144, v93, v92
	;;#ASMEND
	v_ashrrev_i32_e32 v154, 8, v145
	;;#ASMSTART
	v_pk_add_f16 v150, v150, v94
	;;#ASMEND
	;;#ASMSTART
	v_pk_fma_f16 v151, v144, v95, v96
	;;#ASMEND
	;; [unrolled: 13-line block ×4, first 2 shown]
	;;#ASMSTART
	v_and_or_b32 v144, v146, v91, v92
	;;#ASMEND
	;;#ASMSTART
	v_and_or_b32 v145, v146, v93, v92
	;;#ASMEND
	s_nop 0
	;;#ASMSTART
	v_pk_add_f16 v156, v144, v94
	;;#ASMEND
	;;#ASMSTART
	v_pk_fma_f16 v157, v145, v95, v96
	;;#ASMEND
	;;#ASMSTART
	v_and_or_b32 v144, v158, v91, v92
	;;#ASMEND
	;;#ASMSTART
	v_and_or_b32 v145, v158, v93, v92
	;;#ASMEND
	s_nop 0
	;;#ASMSTART
	v_pk_add_f16 v158, v144, v94
	;;#ASMEND
	;;#ASMSTART
	v_pk_fma_f16 v159, v145, v95, v96
	;;#ASMEND
	;; [unrolled: 13-line block ×4, first 2 shown]
	; sched_barrier mask(0x00000000)
	s_barrier
	; sched_barrier mask(0x00000000)
	v_mfma_f32_16x16x32_f16 v[18:21], v[14:17], v[18:21], v[38:41]
	v_mfma_f32_16x16x32_f16 v[18:21], v[10:13], v[62:65], v[18:21]
	;; [unrolled: 1-line block ×4, first 2 shown]
	; sched_barrier mask(0x00000000)
	s_setprio 1
	; sched_barrier mask(0x00000000)
	v_mfma_f32_16x16x32_f16 v[18:21], v[14:17], v[116:119], v[34:37]
	v_mfma_f32_16x16x32_f16 v[18:21], v[10:13], v[120:123], v[18:21]
	;; [unrolled: 1-line block ×8, first 2 shown]
	; sched_barrier mask(0x00000000)
	s_waitcnt lgkmcnt(0)
	s_barrier
	; sched_barrier mask(0x00000000)
	v_mfma_f32_16x16x32_f16 v[14:17], v[14:17], v[148:151], v[26:29]
	v_mfma_f32_16x16x32_f16 v[10:13], v[10:13], v[152:155], v[14:17]
	;; [unrolled: 1-line block ×4, first 2 shown]
	; sched_barrier mask(0x00000000)
	s_setprio 0
	; sched_barrier mask(0x00000000)
	v_sub_u32_e32 v3, v107, v82
	v_lshlrev_b32_e32 v107, 3, v3
	v_lshl_add_u32 v2, v103, 1, v160
	v_add_u32_e32 v3, 0x80, v107
	s_waitcnt vmcnt(5)
	ds_write_b128 v2, v[46:49]
	v_lshl_add_u32 v108, v3, 1, v2
	v_lshrrev_b32_e32 v2, 31, v71
	v_add_u32_e32 v2, v71, v2
	v_add_u32_e32 v6, 0x80, v70
	;; [unrolled: 1-line block ×4, first 2 shown]
	v_ashrrev_i32_e32 v109, 1, v2
	v_lshrrev_b32_e32 v2, 31, v70
	v_lshrrev_b32_e32 v7, 31, v6
	;; [unrolled: 1-line block ×4, first 2 shown]
	v_add_u32_e32 v2, v70, v2
	v_add_u32_e32 v6, v6, v7
	;; [unrolled: 1-line block ×4, first 2 shown]
	s_waitcnt vmcnt(4)
	ds_write_b128 v108, v[42:45]
	s_waitcnt vmcnt(3)
	ds_write_b128 v109, v[22:25] offset:4096
	s_waitcnt vmcnt(2)
	ds_write_b128 v100, v[50:53] offset:4096
	;; [unrolled: 2-line block ×4, first 2 shown]
	v_ashrrev_i32_e32 v2, 1, v2
	v_ashrrev_i32_e32 v6, 1, v6
	;; [unrolled: 1-line block ×4, first 2 shown]
	v_add3_u32 v62, v161, v3, v103
	buffer_load_dwordx4 v[22:25], v99, s[0:3], 0 offen offset:768
	buffer_load_dwordx4 v[18:21], v98, s[0:3], 0 offen offset:768
	v_add_u32_e64 v42, 4, s21
	buffer_load_dwordx4 v[2:5], v2, s[12:15], 0 offen
	v_add_u32_e32 v87, 8, v87
	buffer_load_dwordx4 v[6:9], v6, s[12:15], 0 offen
	v_sub_u32_e32 v42, v42, v106
	buffer_load_dwordx4 v[10:13], v10, s[12:15], 0 offen
	s_add_i32 s21, s21, 2
	buffer_load_dwordx4 v[14:17], v14, s[12:15], 0 offen
	v_lshrrev_b32_e32 v60, 2, v87
	v_mad_u64_u32 v[58:59], s[22:23], v42, s8, v[70:71]
	v_add_u32_e32 v88, v88, v90
	s_cmp_lt_i32 s21, s10
	v_mov_b32_e32 v99, v104
	v_mov_b32_e32 v98, v105
	s_cbranch_scc1 .LBB4_12
; %bb.13:
	s_waitcnt lgkmcnt(0)
	s_barrier
	ds_read_b128 v[54:57], v77
	ds_read_b128 v[50:53], v78
	ds_read_b128 v[82:85], v81 offset:4096
	ds_read_b128 v[46:49], v79
	ds_read_b128 v[42:45], v80
	v_mov_b32_e32 v66, 0xf000f
	v_mov_b32_e32 v67, 0x64006400
	s_waitcnt lgkmcnt(2)
	;;#ASMSTART
	v_and_or_b32 v58, v82, v66, v67
	;;#ASMEND
	v_mov_b32_e32 v68, 0xf000f0
	;;#ASMSTART
	v_and_or_b32 v59, v82, v68, v67
	;;#ASMEND
	v_mov_b32_e32 v69, 0xe408e408
	;;#ASMSTART
	v_pk_add_f16 v58, v58, v69
	;;#ASMEND
	v_mov_b32_e32 v70, 0x2c002c00
	v_mov_b32_e32 v71, 0xd480d480
	;;#ASMSTART
	v_pk_fma_f16 v59, v59, v70, v71
	;;#ASMEND
	v_ashrrev_i32_e32 v60, 8, v82
	;;#ASMSTART
	v_and_or_b32 v61, v60, v66, v67
	;;#ASMEND
	;;#ASMSTART
	v_and_or_b32 v62, v60, v68, v67
	;;#ASMEND
	v_ashrrev_i32_e32 v64, 8, v83
	;;#ASMSTART
	v_pk_add_f16 v60, v61, v69
	;;#ASMEND
	;;#ASMSTART
	v_pk_fma_f16 v61, v62, v70, v71
	;;#ASMEND
	;;#ASMSTART
	v_and_or_b32 v62, v83, v66, v67
	;;#ASMEND
	;;#ASMSTART
	v_and_or_b32 v63, v83, v68, v67
	;;#ASMEND
	s_lshl_b64 s[0:1], s[18:19], 1
	;;#ASMSTART
	v_pk_add_f16 v62, v62, v69
	;;#ASMEND
	;;#ASMSTART
	v_pk_fma_f16 v63, v63, v70, v71
	;;#ASMEND
	;;#ASMSTART
	v_and_or_b32 v65, v64, v66, v67
	;;#ASMEND
	;;#ASMSTART
	v_and_or_b32 v82, v64, v68, v67
	;;#ASMEND
	s_add_u32 s8, s16, s0
	;;#ASMSTART
	v_pk_add_f16 v64, v65, v69
	;;#ASMEND
	;;#ASMSTART
	v_pk_fma_f16 v65, v82, v70, v71
	;;#ASMEND
	;;#ASMSTART
	v_and_or_b32 v82, v84, v66, v67
	;;#ASMEND
	;;#ASMSTART
	v_and_or_b32 v83, v84, v68, v67
	;;#ASMEND
	s_mul_i32 s0, s20, s9
	;;#ASMSTART
	v_pk_add_f16 v86, v82, v69
	;;#ASMEND
	v_ashrrev_i32_e32 v82, 8, v84
	;;#ASMSTART
	v_pk_fma_f16 v87, v83, v70, v71
	;;#ASMEND
	;;#ASMSTART
	v_and_or_b32 v83, v82, v66, v67
	;;#ASMEND
	;;#ASMSTART
	v_and_or_b32 v82, v82, v68, v67
	;;#ASMEND
	v_ashrrev_i32_e32 v84, 8, v85
	;;#ASMSTART
	v_pk_add_f16 v88, v83, v69
	;;#ASMEND
	;;#ASMSTART
	v_pk_fma_f16 v89, v82, v70, v71
	;;#ASMEND
	;;#ASMSTART
	v_and_or_b32 v82, v85, v66, v67
	;;#ASMEND
	;;#ASMSTART
	v_and_or_b32 v83, v85, v68, v67
	;;#ASMEND
	s_mul_hi_u32 s3, 0, s9
	;;#ASMSTART
	v_pk_add_f16 v82, v82, v69
	;;#ASMEND
	;;#ASMSTART
	v_pk_fma_f16 v83, v83, v70, v71
	;;#ASMEND
	;;#ASMSTART
	v_and_or_b32 v85, v84, v66, v67
	;;#ASMEND
	;;#ASMSTART
	v_and_or_b32 v90, v84, v68, v67
	;;#ASMEND
	s_addc_u32 s2, s17, s1
	;;#ASMSTART
	v_pk_add_f16 v84, v85, v69
	;;#ASMEND
	;;#ASMSTART
	v_pk_fma_f16 v85, v90, v70, v71
	;;#ASMEND
	ds_read_b128 v[90:93], v76 offset:4096
	s_waitcnt lgkmcnt(0)
	;;#ASMSTART
	v_and_or_b32 v94, v90, v66, v67
	;;#ASMEND
	;;#ASMSTART
	v_and_or_b32 v95, v90, v68, v67
	;;#ASMEND
	s_add_i32 s3, s3, s0
	;;#ASMSTART
	v_pk_add_f16 v94, v94, v69
	;;#ASMEND
	v_ashrrev_i32_e32 v90, 8, v90
	;;#ASMSTART
	v_pk_fma_f16 v95, v95, v70, v71
	;;#ASMEND
	;;#ASMSTART
	v_and_or_b32 v96, v90, v66, v67
	;;#ASMEND
	;;#ASMSTART
	v_and_or_b32 v90, v90, v68, v67
	;;#ASMEND
	s_nop 0
	;;#ASMSTART
	v_pk_add_f16 v96, v96, v69
	;;#ASMEND
	;;#ASMSTART
	v_pk_fma_f16 v97, v90, v70, v71
	;;#ASMEND
	;;#ASMSTART
	v_and_or_b32 v90, v91, v66, v67
	;;#ASMEND
	;;#ASMSTART
	v_and_or_b32 v98, v91, v68, v67
	;;#ASMEND
	s_nop 0
	;;#ASMSTART
	v_pk_add_f16 v110, v90, v69
	;;#ASMEND
	v_ashrrev_i32_e32 v90, 8, v91
	;;#ASMSTART
	v_pk_fma_f16 v111, v98, v70, v71
	;;#ASMEND
	;;#ASMSTART
	v_and_or_b32 v91, v90, v66, v67
	;;#ASMEND
	;;#ASMSTART
	v_and_or_b32 v90, v90, v68, v67
	;;#ASMEND
	s_nop 0
	;;#ASMSTART
	v_pk_add_f16 v112, v91, v69
	;;#ASMEND
	;;#ASMSTART
	v_pk_fma_f16 v113, v90, v70, v71
	;;#ASMEND
	;;#ASMSTART
	v_and_or_b32 v90, v92, v66, v67
	;;#ASMEND
	;;#ASMSTART
	v_and_or_b32 v91, v92, v68, v67
	;;#ASMEND
	s_nop 0
	;;#ASMSTART
	v_pk_add_f16 v114, v90, v69
	;;#ASMEND
	v_ashrrev_i32_e32 v90, 8, v92
	;;#ASMSTART
	v_pk_fma_f16 v115, v91, v70, v71
	;;#ASMEND
	;;#ASMSTART
	v_and_or_b32 v91, v90, v66, v67
	;;#ASMEND
	;;#ASMSTART
	v_and_or_b32 v90, v90, v68, v67
	;;#ASMEND
	v_ashrrev_i32_e32 v92, 8, v93
	;;#ASMSTART
	v_pk_add_f16 v116, v91, v69
	;;#ASMEND
	;;#ASMSTART
	v_pk_fma_f16 v117, v90, v70, v71
	;;#ASMEND
	;;#ASMSTART
	v_and_or_b32 v90, v93, v66, v67
	;;#ASMEND
	;;#ASMSTART
	v_and_or_b32 v91, v93, v68, v67
	;;#ASMEND
	s_nop 0
	;;#ASMSTART
	v_pk_add_f16 v90, v90, v69
	;;#ASMEND
	;;#ASMSTART
	v_pk_fma_f16 v91, v91, v70, v71
	;;#ASMEND
	;;#ASMSTART
	v_and_or_b32 v93, v92, v66, v67
	;;#ASMEND
	;;#ASMSTART
	v_and_or_b32 v98, v92, v68, v67
	;;#ASMEND
	s_nop 0
	;;#ASMSTART
	v_pk_add_f16 v92, v93, v69
	;;#ASMEND
	;;#ASMSTART
	v_pk_fma_f16 v93, v98, v70, v71
	;;#ASMEND
	ds_read_b128 v[118:121], v75 offset:4096
	s_waitcnt lgkmcnt(0)
	;;#ASMSTART
	v_and_or_b32 v98, v118, v66, v67
	;;#ASMEND
	;;#ASMSTART
	v_and_or_b32 v99, v118, v68, v67
	;;#ASMEND
	s_nop 0
	;;#ASMSTART
	v_pk_add_f16 v122, v98, v69
	;;#ASMEND
	v_ashrrev_i32_e32 v98, 8, v118
	;;#ASMSTART
	v_pk_fma_f16 v123, v99, v70, v71
	;;#ASMEND
	;;#ASMSTART
	v_and_or_b32 v99, v98, v66, v67
	;;#ASMEND
	;;#ASMSTART
	v_and_or_b32 v98, v98, v68, v67
	;;#ASMEND
	s_nop 0
	;;#ASMSTART
	v_pk_add_f16 v124, v99, v69
	;;#ASMEND
	;;#ASMSTART
	v_pk_fma_f16 v125, v98, v70, v71
	;;#ASMEND
	;;#ASMSTART
	v_and_or_b32 v98, v119, v66, v67
	;;#ASMEND
	;;#ASMSTART
	v_and_or_b32 v99, v119, v68, v67
	;;#ASMEND
	s_nop 0
	;;#ASMSTART
	v_pk_add_f16 v126, v98, v69
	;;#ASMEND
	v_ashrrev_i32_e32 v98, 8, v119
	;;#ASMSTART
	v_pk_fma_f16 v127, v99, v70, v71
	;;#ASMEND
	;;#ASMSTART
	v_and_or_b32 v99, v98, v66, v67
	;;#ASMEND
	;;#ASMSTART
	v_and_or_b32 v98, v98, v68, v67
	;;#ASMEND
	s_nop 0
	;;#ASMSTART
	v_pk_add_f16 v128, v99, v69
	;;#ASMEND
	;;#ASMSTART
	v_pk_fma_f16 v129, v98, v70, v71
	;;#ASMEND
	;; [unrolled: 27-line block ×4, first 2 shown]
	ds_read_b128 v[134:137], v74 offset:4096
	s_waitcnt lgkmcnt(0)
	;;#ASMSTART
	v_and_or_b32 v98, v134, v66, v67
	;;#ASMEND
	;;#ASMSTART
	v_and_or_b32 v99, v134, v68, v67
	;;#ASMEND
	s_nop 0
	;;#ASMSTART
	v_pk_add_f16 v138, v98, v69
	;;#ASMEND
	v_ashrrev_i32_e32 v98, 8, v134
	;;#ASMSTART
	v_pk_fma_f16 v139, v99, v70, v71
	;;#ASMEND
	;;#ASMSTART
	v_and_or_b32 v99, v98, v66, v67
	;;#ASMEND
	;;#ASMSTART
	v_and_or_b32 v98, v98, v68, v67
	;;#ASMEND
	s_nop 0
	;;#ASMSTART
	v_pk_add_f16 v140, v99, v69
	;;#ASMEND
	;;#ASMSTART
	v_pk_fma_f16 v141, v98, v70, v71
	;;#ASMEND
	;;#ASMSTART
	v_and_or_b32 v98, v135, v66, v67
	;;#ASMEND
	;;#ASMSTART
	v_and_or_b32 v99, v135, v68, v67
	;;#ASMEND
	s_nop 0
	;;#ASMSTART
	v_pk_add_f16 v142, v98, v69
	;;#ASMEND
	v_ashrrev_i32_e32 v98, 8, v135
	;;#ASMSTART
	v_pk_fma_f16 v143, v99, v70, v71
	;;#ASMEND
	;;#ASMSTART
	v_and_or_b32 v99, v98, v66, v67
	;;#ASMEND
	;;#ASMSTART
	v_and_or_b32 v98, v98, v68, v67
	;;#ASMEND
	s_nop 0
	;;#ASMSTART
	v_pk_add_f16 v144, v99, v69
	;;#ASMEND
	;;#ASMSTART
	v_pk_fma_f16 v145, v98, v70, v71
	;;#ASMEND
	;; [unrolled: 27-line block ×4, first 2 shown]
	; sched_barrier mask(0x00000000)
	s_barrier
	; sched_barrier mask(0x00000000)
	v_mfma_f32_16x16x32_f16 v[38:41], v[54:57], v[58:61], v[38:41]
	v_mfma_f32_16x16x32_f16 v[38:41], v[50:53], v[62:65], v[38:41]
	;; [unrolled: 1-line block ×4, first 2 shown]
	; sched_barrier mask(0x00000000)
	s_setprio 1
	; sched_barrier mask(0x00000000)
	v_mfma_f32_16x16x32_f16 v[34:37], v[54:57], v[94:97], v[34:37]
	v_mfma_f32_16x16x32_f16 v[30:33], v[54:57], v[122:125], v[30:33]
	;; [unrolled: 1-line block ×8, first 2 shown]
	; sched_barrier mask(0x00000000)
	s_waitcnt lgkmcnt(0)
	s_barrier
	; sched_barrier mask(0x00000000)
	v_mfma_f32_16x16x32_f16 v[26:29], v[54:57], v[138:141], v[26:29]
	v_mfma_f32_16x16x32_f16 v[26:29], v[50:53], v[142:145], v[26:29]
	;; [unrolled: 1-line block ×4, first 2 shown]
	; sched_barrier mask(0x00000000)
	s_setprio 0
	; sched_barrier mask(0x00000000)
	v_lshl_add_u32 v42, v103, 1, v108
	s_waitcnt vmcnt(5)
	ds_write_b128 v42, v[22:25]
	v_lshl_add_u32 v22, v107, 1, v42
	s_waitcnt vmcnt(4)
	ds_write_b128 v22, v[18:21] offset:256
	s_waitcnt vmcnt(3)
	ds_write_b128 v109, v[2:5] offset:4096
	;; [unrolled: 2-line block ×5, first 2 shown]
	s_waitcnt lgkmcnt(0)
	s_barrier
	ds_read_b128 v[22:25], v81 offset:4096
	ds_read_b128 v[14:17], v77
	ds_read_b128 v[10:13], v78
	;; [unrolled: 1-line block ×4, first 2 shown]
	s_waitcnt lgkmcnt(4)
	;;#ASMSTART
	v_and_or_b32 v18, v22, v66, v67
	;;#ASMEND
	;;#ASMSTART
	v_and_or_b32 v19, v22, v68, v67
	;;#ASMEND
	v_ashrrev_i32_e32 v20, 8, v22
	;;#ASMSTART
	v_pk_add_f16 v18, v18, v69
	;;#ASMEND
	;;#ASMSTART
	v_pk_fma_f16 v19, v19, v70, v71
	;;#ASMEND
	;;#ASMSTART
	v_and_or_b32 v21, v20, v66, v67
	;;#ASMEND
	;;#ASMSTART
	v_and_or_b32 v22, v20, v68, v67
	;;#ASMEND
	s_nop 0
	;;#ASMSTART
	v_pk_add_f16 v20, v21, v69
	;;#ASMEND
	;;#ASMSTART
	v_pk_fma_f16 v21, v22, v70, v71
	;;#ASMEND
	;;#ASMSTART
	v_and_or_b32 v22, v23, v66, v67
	;;#ASMEND
	;;#ASMSTART
	v_and_or_b32 v43, v23, v68, v67
	;;#ASMEND
	s_nop 0
	;;#ASMSTART
	v_pk_add_f16 v42, v22, v69
	;;#ASMEND
	v_ashrrev_i32_e32 v22, 8, v23
	;;#ASMSTART
	v_pk_fma_f16 v43, v43, v70, v71
	;;#ASMEND
	;;#ASMSTART
	v_and_or_b32 v23, v22, v66, v67
	;;#ASMEND
	;;#ASMSTART
	v_and_or_b32 v22, v22, v68, v67
	;;#ASMEND
	s_nop 0
	;;#ASMSTART
	v_pk_add_f16 v44, v23, v69
	;;#ASMEND
	;;#ASMSTART
	v_pk_fma_f16 v45, v22, v70, v71
	;;#ASMEND
	;;#ASMSTART
	v_and_or_b32 v22, v24, v66, v67
	;;#ASMEND
	;;#ASMSTART
	v_and_or_b32 v23, v24, v68, v67
	;;#ASMEND
	s_nop 0
	;;#ASMSTART
	v_pk_add_f16 v46, v22, v69
	;;#ASMEND
	v_ashrrev_i32_e32 v22, 8, v24
	;;#ASMSTART
	v_pk_fma_f16 v47, v23, v70, v71
	;;#ASMEND
	;;#ASMSTART
	v_and_or_b32 v23, v22, v66, v67
	;;#ASMEND
	;;#ASMSTART
	v_and_or_b32 v22, v22, v68, v67
	;;#ASMEND
	v_ashrrev_i32_e32 v24, 8, v25
	;;#ASMSTART
	v_pk_add_f16 v48, v23, v69
	;;#ASMEND
	;;#ASMSTART
	v_pk_fma_f16 v49, v22, v70, v71
	;;#ASMEND
	;;#ASMSTART
	v_and_or_b32 v22, v25, v66, v67
	;;#ASMEND
	;;#ASMSTART
	v_and_or_b32 v23, v25, v68, v67
	;;#ASMEND
	s_nop 0
	;;#ASMSTART
	v_pk_add_f16 v22, v22, v69
	;;#ASMEND
	;;#ASMSTART
	v_pk_fma_f16 v23, v23, v70, v71
	;;#ASMEND
	;;#ASMSTART
	v_and_or_b32 v25, v24, v66, v67
	;;#ASMEND
	;;#ASMSTART
	v_and_or_b32 v50, v24, v68, v67
	;;#ASMEND
	s_nop 0
	;;#ASMSTART
	v_pk_add_f16 v24, v25, v69
	;;#ASMEND
	;;#ASMSTART
	v_pk_fma_f16 v25, v50, v70, v71
	;;#ASMEND
	ds_read_b128 v[50:53], v76 offset:4096
	s_waitcnt lgkmcnt(0)
	;;#ASMSTART
	v_and_or_b32 v54, v50, v66, v67
	;;#ASMEND
	;;#ASMSTART
	v_and_or_b32 v55, v50, v68, v67
	;;#ASMEND
	v_ashrrev_i32_e32 v50, 8, v50
	;;#ASMSTART
	v_pk_add_f16 v54, v54, v69
	;;#ASMEND
	;;#ASMSTART
	v_pk_fma_f16 v55, v55, v70, v71
	;;#ASMEND
	;;#ASMSTART
	v_and_or_b32 v56, v50, v66, v67
	;;#ASMEND
	;;#ASMSTART
	v_and_or_b32 v50, v50, v68, v67
	;;#ASMEND
	s_nop 0
	;;#ASMSTART
	v_pk_add_f16 v56, v56, v69
	;;#ASMEND
	;;#ASMSTART
	v_pk_fma_f16 v57, v50, v70, v71
	;;#ASMEND
	;;#ASMSTART
	v_and_or_b32 v50, v51, v66, v67
	;;#ASMEND
	;;#ASMSTART
	v_and_or_b32 v59, v51, v68, v67
	;;#ASMEND
	s_nop 0
	;;#ASMSTART
	v_pk_add_f16 v58, v50, v69
	;;#ASMEND
	v_ashrrev_i32_e32 v50, 8, v51
	;;#ASMSTART
	v_pk_fma_f16 v59, v59, v70, v71
	;;#ASMEND
	;;#ASMSTART
	v_and_or_b32 v51, v50, v66, v67
	;;#ASMEND
	;;#ASMSTART
	v_and_or_b32 v50, v50, v68, v67
	;;#ASMEND
	s_nop 0
	;;#ASMSTART
	v_pk_add_f16 v60, v51, v69
	;;#ASMEND
	;;#ASMSTART
	v_pk_fma_f16 v61, v50, v70, v71
	;;#ASMEND
	;;#ASMSTART
	v_and_or_b32 v50, v52, v66, v67
	;;#ASMEND
	;;#ASMSTART
	v_and_or_b32 v51, v52, v68, v67
	;;#ASMEND
	s_nop 0
	;;#ASMSTART
	v_pk_add_f16 v62, v50, v69
	;;#ASMEND
	v_ashrrev_i32_e32 v50, 8, v52
	;;#ASMSTART
	v_pk_fma_f16 v63, v51, v70, v71
	;;#ASMEND
	;;#ASMSTART
	v_and_or_b32 v51, v50, v66, v67
	;;#ASMEND
	;;#ASMSTART
	v_and_or_b32 v50, v50, v68, v67
	;;#ASMEND
	v_ashrrev_i32_e32 v52, 8, v53
	;;#ASMSTART
	v_pk_add_f16 v64, v51, v69
	;;#ASMEND
	;;#ASMSTART
	v_pk_fma_f16 v65, v50, v70, v71
	;;#ASMEND
	;;#ASMSTART
	v_and_or_b32 v50, v53, v66, v67
	;;#ASMEND
	;;#ASMSTART
	v_and_or_b32 v51, v53, v68, v67
	;;#ASMEND
	s_nop 0
	;;#ASMSTART
	v_pk_add_f16 v50, v50, v69
	;;#ASMEND
	;;#ASMSTART
	v_pk_fma_f16 v51, v51, v70, v71
	;;#ASMEND
	;;#ASMSTART
	v_and_or_b32 v53, v52, v66, v67
	;;#ASMEND
	;;#ASMSTART
	v_and_or_b32 v76, v52, v68, v67
	;;#ASMEND
	s_nop 0
	;;#ASMSTART
	v_pk_add_f16 v52, v53, v69
	;;#ASMEND
	;;#ASMSTART
	v_pk_fma_f16 v53, v76, v70, v71
	;;#ASMEND
	ds_read_b128 v[76:79], v75 offset:4096
	s_waitcnt lgkmcnt(0)
	;;#ASMSTART
	v_and_or_b32 v75, v76, v66, v67
	;;#ASMEND
	;;#ASMSTART
	v_and_or_b32 v81, v76, v68, v67
	;;#ASMEND
	s_nop 0
	;;#ASMSTART
	v_pk_add_f16 v80, v75, v69
	;;#ASMEND
	v_ashrrev_i32_e32 v75, 8, v76
	;;#ASMSTART
	v_pk_fma_f16 v81, v81, v70, v71
	;;#ASMEND
	;;#ASMSTART
	v_and_or_b32 v76, v75, v66, v67
	;;#ASMEND
	;;#ASMSTART
	v_and_or_b32 v75, v75, v68, v67
	;;#ASMEND
	s_nop 0
	;;#ASMSTART
	v_pk_add_f16 v82, v76, v69
	;;#ASMEND
	;;#ASMSTART
	v_pk_fma_f16 v83, v75, v70, v71
	;;#ASMEND
	;;#ASMSTART
	v_and_or_b32 v75, v77, v66, v67
	;;#ASMEND
	;;#ASMSTART
	v_and_or_b32 v76, v77, v68, v67
	;;#ASMEND
	s_nop 0
	;;#ASMSTART
	v_pk_add_f16 v84, v75, v69
	;;#ASMEND
	v_ashrrev_i32_e32 v75, 8, v77
	;;#ASMSTART
	v_pk_fma_f16 v85, v76, v70, v71
	;;#ASMEND
	;;#ASMSTART
	v_and_or_b32 v76, v75, v66, v67
	;;#ASMEND
	;;#ASMSTART
	v_and_or_b32 v75, v75, v68, v67
	;;#ASMEND
	s_nop 0
	;;#ASMSTART
	v_pk_add_f16 v86, v76, v69
	;;#ASMEND
	;;#ASMSTART
	v_pk_fma_f16 v87, v75, v70, v71
	;;#ASMEND
	;; [unrolled: 27-line block ×3, first 2 shown]
	;;#ASMSTART
	v_and_or_b32 v75, v79, v66, v67
	;;#ASMEND
	;;#ASMSTART
	v_and_or_b32 v77, v79, v68, v67
	;;#ASMEND
	s_nop 0
	;;#ASMSTART
	v_pk_add_f16 v76, v75, v69
	;;#ASMEND
	;;#ASMSTART
	v_pk_fma_f16 v77, v77, v70, v71
	;;#ASMEND
	v_ashrrev_i32_e32 v75, 8, v79
	;;#ASMSTART
	v_and_or_b32 v78, v75, v66, v67
	;;#ASMEND
	;;#ASMSTART
	v_and_or_b32 v75, v75, v68, v67
	;;#ASMEND
	s_nop 0
	;;#ASMSTART
	v_pk_add_f16 v78, v78, v69
	;;#ASMEND
	;;#ASMSTART
	v_pk_fma_f16 v79, v75, v70, v71
	;;#ASMEND
	ds_read_b128 v[92:95], v74 offset:4096
	s_waitcnt lgkmcnt(0)
	;;#ASMSTART
	v_and_or_b32 v74, v92, v66, v67
	;;#ASMEND
	;;#ASMSTART
	v_and_or_b32 v75, v92, v68, v67
	;;#ASMEND
	s_nop 0
	;;#ASMSTART
	v_pk_add_f16 v96, v74, v69
	;;#ASMEND
	v_ashrrev_i32_e32 v74, 8, v92
	;;#ASMSTART
	v_pk_fma_f16 v97, v75, v70, v71
	;;#ASMEND
	;;#ASMSTART
	v_and_or_b32 v75, v74, v66, v67
	;;#ASMEND
	;;#ASMSTART
	v_and_or_b32 v74, v74, v68, v67
	;;#ASMEND
	s_nop 0
	;;#ASMSTART
	v_pk_add_f16 v98, v75, v69
	;;#ASMEND
	;;#ASMSTART
	v_pk_fma_f16 v99, v74, v70, v71
	;;#ASMEND
	;;#ASMSTART
	v_and_or_b32 v74, v93, v66, v67
	;;#ASMEND
	;;#ASMSTART
	v_and_or_b32 v75, v93, v68, v67
	;;#ASMEND
	s_nop 0
	;;#ASMSTART
	v_pk_add_f16 v100, v74, v69
	;;#ASMEND
	v_ashrrev_i32_e32 v74, 8, v93
	;;#ASMSTART
	v_pk_fma_f16 v101, v75, v70, v71
	;;#ASMEND
	;;#ASMSTART
	v_and_or_b32 v75, v74, v66, v67
	;;#ASMEND
	;;#ASMSTART
	v_and_or_b32 v74, v74, v68, v67
	;;#ASMEND
	s_nop 0
	;;#ASMSTART
	v_pk_add_f16 v102, v75, v69
	;;#ASMEND
	;;#ASMSTART
	v_pk_fma_f16 v103, v74, v70, v71
	;;#ASMEND
	;; [unrolled: 27-line block ×3, first 2 shown]
	;;#ASMSTART
	v_and_or_b32 v74, v95, v66, v67
	;;#ASMEND
	;;#ASMSTART
	v_and_or_b32 v75, v95, v68, v67
	;;#ASMEND
	s_nop 0
	;;#ASMSTART
	v_pk_add_f16 v92, v74, v69
	;;#ASMEND
	;;#ASMSTART
	v_pk_fma_f16 v93, v75, v70, v71
	;;#ASMEND
	v_ashrrev_i32_e32 v74, 8, v95
	;;#ASMSTART
	v_and_or_b32 v66, v74, v66, v67
	;;#ASMEND
	;;#ASMSTART
	v_and_or_b32 v67, v74, v68, v67
	;;#ASMEND
	s_nop 0
	;;#ASMSTART
	v_pk_add_f16 v94, v66, v69
	;;#ASMEND
	;;#ASMSTART
	v_pk_fma_f16 v95, v67, v70, v71
	;;#ASMEND
	; sched_barrier mask(0x00000000)
	s_barrier
	; sched_barrier mask(0x00000000)
	v_mfma_f32_16x16x32_f16 v[18:21], v[14:17], v[18:21], v[38:41]
	v_mfma_f32_16x16x32_f16 v[18:21], v[10:13], v[42:45], v[18:21]
	;; [unrolled: 1-line block ×4, first 2 shown]
	; sched_barrier mask(0x00000000)
	s_setprio 1
	; sched_barrier mask(0x00000000)
	v_mfma_f32_16x16x32_f16 v[22:25], v[14:17], v[54:57], v[34:37]
	v_mfma_f32_16x16x32_f16 v[30:33], v[14:17], v[80:83], v[30:33]
	v_mfma_f32_16x16x32_f16 v[22:25], v[10:13], v[58:61], v[22:25]
	v_mfma_f32_16x16x32_f16 v[30:33], v[10:13], v[84:87], v[30:33]
	v_mfma_f32_16x16x32_f16 v[22:25], v[6:9], v[62:65], v[22:25]
	v_mfma_f32_16x16x32_f16 v[30:33], v[6:9], v[88:91], v[30:33]
	v_mfma_f32_16x16x32_f16 v[22:25], v[2:5], v[50:53], v[22:25]
	v_mfma_f32_16x16x32_f16 v[30:33], v[2:5], v[76:79], v[30:33]
	; sched_barrier mask(0x00000000)
	s_waitcnt lgkmcnt(0)
	s_barrier
	; sched_barrier mask(0x00000000)
	v_mfma_f32_16x16x32_f16 v[14:17], v[14:17], v[96:99], v[26:29]
	v_mfma_f32_16x16x32_f16 v[10:13], v[10:13], v[100:103], v[14:17]
	;; [unrolled: 1-line block ×4, first 2 shown]
	; sched_barrier mask(0x00000000)
	s_setprio 0
	; sched_barrier mask(0x00000000)
	s_nop 5
	v_lshlrev_b32_e32 v6, 2, v0
	v_lshlrev_b32_e32 v0, 4, v0
	v_and_b32_e32 v0, 0x300, v0
	v_cvt_f16_f32_e32 v10, v18
	v_lshl_or_b32 v0, v73, 1, v0
	v_lshl_add_u32 v11, v72, 1, v0
	v_cvt_f16_f32_e32 v0, v19
	v_cvt_f16_f32_e32 v12, v20
	v_and_b32_e32 v6, 28, v6
	v_cvt_f16_f32_e32 v13, v21
	s_waitcnt lgkmcnt(0)
	s_barrier
	ds_write_b16 v11, v10
	ds_write_b16 v11, v0 offset:64
	ds_write_b16 v11, v12 offset:128
	;; [unrolled: 1-line block ×3, first 2 shown]
	v_lshlrev_b32_e32 v0, 1, v6
	v_or_b32_e32 v7, s6, v6
	v_lshl_or_b32 v6, v1, 6, v0
	v_lshl_or_b32 v8, s11, 4, v1
	s_waitcnt lgkmcnt(0)
	s_barrier
	ds_read_b64 v[0:1], v6
	v_mul_lo_u32 v9, v8, s9
	v_cmp_gt_i32_e32 vcc, s5, v7
	v_cmp_gt_i32_e64 s[0:1], s4, v8
	s_add_i32 s3, s5, s3
	s_lshl_b32 s10, s3, 1
	s_and_b32 s9, s2, 0xffff
	v_add_lshl_u32 v8, v9, v7, 1
	v_bfrev_b32_e32 v9, 1
	s_and_b64 s[2:3], s[0:1], vcc
	v_cndmask_b32_e64 v10, v9, 0, s[2:3]
	s_mov_b32 s11, 0x20000
	v_add_u32_e32 v10, v10, v8
	s_waitcnt lgkmcnt(0)
	buffer_store_dwordx2 v[0:1], v10, s[8:11], 0 offen
	v_cvt_f16_f32_e32 v0, v22
	v_cvt_f16_f32_e32 v1, v23
	v_cvt_f16_f32_e32 v12, v24
	v_cvt_f16_f32_e32 v13, v25
	v_or_b32_e32 v10, 32, v7
	s_waitcnt lgkmcnt(0)
	s_barrier
	ds_write_b16 v11, v0
	ds_write_b16 v11, v1 offset:64
	ds_write_b16 v11, v12 offset:128
	ds_write_b16 v11, v13 offset:192
	s_waitcnt lgkmcnt(0)
	s_barrier
	ds_read_b64 v[0:1], v6
	v_cmp_gt_i32_e32 vcc, s5, v10
	s_and_b64 s[2:3], s[0:1], vcc
	v_cndmask_b32_e64 v10, v9, 0, s[2:3]
	v_add_u32_e32 v10, v8, v10
	s_waitcnt lgkmcnt(0)
	buffer_store_dwordx2 v[0:1], v10, s[8:11], 0 offen offset:64
	v_cvt_f16_f32_e32 v0, v30
	v_cvt_f16_f32_e32 v1, v31
	v_cvt_f16_f32_e32 v12, v32
	v_cvt_f16_f32_e32 v13, v33
	v_or_b32_e32 v10, 64, v7
	s_waitcnt lgkmcnt(0)
	s_barrier
	ds_write_b16 v11, v0
	ds_write_b16 v11, v1 offset:64
	ds_write_b16 v11, v12 offset:128
	ds_write_b16 v11, v13 offset:192
	s_waitcnt lgkmcnt(0)
	s_barrier
	ds_read_b64 v[0:1], v6
	v_cmp_gt_i32_e32 vcc, s5, v10
	s_and_b64 s[2:3], s[0:1], vcc
	v_cndmask_b32_e64 v10, v9, 0, s[2:3]
	v_add_u32_e32 v10, v8, v10
	s_waitcnt lgkmcnt(0)
	buffer_store_dwordx2 v[0:1], v10, s[8:11], 0 offen offset:128
	;; [unrolled: 20-line block ×3, first 2 shown]
	s_endpgm
	.section	.rodata,"a",@progbits
	.p2align	6, 0x0
	.amdhsa_kernel _ZN2ck27kernel_gemm_xdl_cshuffle_v3INS_28GridwiseGemm_xdl_cshuffle_v3INS_13tensor_layout4gemm8RowMajorENS3_11ColumnMajorES4_DF16_NS_7pk_i4_tEfDF16_DF16_NS_16tensor_operation12element_wise11PassThroughES9_S9_LNS7_6device18GemmSpecializationE0ELi128ELi16ELi128ELi128ELi8ELi32ELi16ELi16ELi1ELi4ENS_8SequenceIJLi16ELi8ELi1EEEENSC_IJLi1ELi0ELi2EEEESE_Li2ELi8ELi8ELb0ELi0ENSC_IJLi4ELi32ELi1EEEESE_SE_Li2ELi32ELi32ELb0ELi0ELi1ELi1ENSC_IJLi1ELi16ELi1ELi8EEEELi4ELNS_26BlockGemmPipelineSchedulerE1ELNS_24BlockGemmPipelineVersionE1EDF16_DF16_Lb0ELb1ELb0ELi0ELb0EEELb1ELNS_25InMemoryDataOperationEnumE0ELi2ELNS_10TailNumberE10EEEvNT_8ArgumentE
		.amdhsa_group_segment_fixed_size 12288
		.amdhsa_private_segment_fixed_size 0
		.amdhsa_kernarg_size 112
		.amdhsa_user_sgpr_count 2
		.amdhsa_user_sgpr_dispatch_ptr 0
		.amdhsa_user_sgpr_queue_ptr 0
		.amdhsa_user_sgpr_kernarg_segment_ptr 1
		.amdhsa_user_sgpr_dispatch_id 0
		.amdhsa_user_sgpr_kernarg_preload_length 0
		.amdhsa_user_sgpr_kernarg_preload_offset 0
		.amdhsa_user_sgpr_private_segment_size 0
		.amdhsa_uses_dynamic_stack 0
		.amdhsa_enable_private_segment 0
		.amdhsa_system_sgpr_workgroup_id_x 1
		.amdhsa_system_sgpr_workgroup_id_y 0
		.amdhsa_system_sgpr_workgroup_id_z 1
		.amdhsa_system_sgpr_workgroup_info 0
		.amdhsa_system_vgpr_workitem_id 0
		.amdhsa_next_free_vgpr 163
		.amdhsa_next_free_sgpr 75
		.amdhsa_accum_offset 164
		.amdhsa_reserve_vcc 1
		.amdhsa_float_round_mode_32 0
		.amdhsa_float_round_mode_16_64 0
		.amdhsa_float_denorm_mode_32 3
		.amdhsa_float_denorm_mode_16_64 3
		.amdhsa_dx10_clamp 1
		.amdhsa_ieee_mode 1
		.amdhsa_fp16_overflow 0
		.amdhsa_tg_split 0
		.amdhsa_exception_fp_ieee_invalid_op 0
		.amdhsa_exception_fp_denorm_src 0
		.amdhsa_exception_fp_ieee_div_zero 0
		.amdhsa_exception_fp_ieee_overflow 0
		.amdhsa_exception_fp_ieee_underflow 0
		.amdhsa_exception_fp_ieee_inexact 0
		.amdhsa_exception_int_div_zero 0
	.end_amdhsa_kernel
	.section	.text._ZN2ck27kernel_gemm_xdl_cshuffle_v3INS_28GridwiseGemm_xdl_cshuffle_v3INS_13tensor_layout4gemm8RowMajorENS3_11ColumnMajorES4_DF16_NS_7pk_i4_tEfDF16_DF16_NS_16tensor_operation12element_wise11PassThroughES9_S9_LNS7_6device18GemmSpecializationE0ELi128ELi16ELi128ELi128ELi8ELi32ELi16ELi16ELi1ELi4ENS_8SequenceIJLi16ELi8ELi1EEEENSC_IJLi1ELi0ELi2EEEESE_Li2ELi8ELi8ELb0ELi0ENSC_IJLi4ELi32ELi1EEEESE_SE_Li2ELi32ELi32ELb0ELi0ELi1ELi1ENSC_IJLi1ELi16ELi1ELi8EEEELi4ELNS_26BlockGemmPipelineSchedulerE1ELNS_24BlockGemmPipelineVersionE1EDF16_DF16_Lb0ELb1ELb0ELi0ELb0EEELb1ELNS_25InMemoryDataOperationEnumE0ELi2ELNS_10TailNumberE10EEEvNT_8ArgumentE,"axG",@progbits,_ZN2ck27kernel_gemm_xdl_cshuffle_v3INS_28GridwiseGemm_xdl_cshuffle_v3INS_13tensor_layout4gemm8RowMajorENS3_11ColumnMajorES4_DF16_NS_7pk_i4_tEfDF16_DF16_NS_16tensor_operation12element_wise11PassThroughES9_S9_LNS7_6device18GemmSpecializationE0ELi128ELi16ELi128ELi128ELi8ELi32ELi16ELi16ELi1ELi4ENS_8SequenceIJLi16ELi8ELi1EEEENSC_IJLi1ELi0ELi2EEEESE_Li2ELi8ELi8ELb0ELi0ENSC_IJLi4ELi32ELi1EEEESE_SE_Li2ELi32ELi32ELb0ELi0ELi1ELi1ENSC_IJLi1ELi16ELi1ELi8EEEELi4ELNS_26BlockGemmPipelineSchedulerE1ELNS_24BlockGemmPipelineVersionE1EDF16_DF16_Lb0ELb1ELb0ELi0ELb0EEELb1ELNS_25InMemoryDataOperationEnumE0ELi2ELNS_10TailNumberE10EEEvNT_8ArgumentE,comdat
.Lfunc_end4:
	.size	_ZN2ck27kernel_gemm_xdl_cshuffle_v3INS_28GridwiseGemm_xdl_cshuffle_v3INS_13tensor_layout4gemm8RowMajorENS3_11ColumnMajorES4_DF16_NS_7pk_i4_tEfDF16_DF16_NS_16tensor_operation12element_wise11PassThroughES9_S9_LNS7_6device18GemmSpecializationE0ELi128ELi16ELi128ELi128ELi8ELi32ELi16ELi16ELi1ELi4ENS_8SequenceIJLi16ELi8ELi1EEEENSC_IJLi1ELi0ELi2EEEESE_Li2ELi8ELi8ELb0ELi0ENSC_IJLi4ELi32ELi1EEEESE_SE_Li2ELi32ELi32ELb0ELi0ELi1ELi1ENSC_IJLi1ELi16ELi1ELi8EEEELi4ELNS_26BlockGemmPipelineSchedulerE1ELNS_24BlockGemmPipelineVersionE1EDF16_DF16_Lb0ELb1ELb0ELi0ELb0EEELb1ELNS_25InMemoryDataOperationEnumE0ELi2ELNS_10TailNumberE10EEEvNT_8ArgumentE, .Lfunc_end4-_ZN2ck27kernel_gemm_xdl_cshuffle_v3INS_28GridwiseGemm_xdl_cshuffle_v3INS_13tensor_layout4gemm8RowMajorENS3_11ColumnMajorES4_DF16_NS_7pk_i4_tEfDF16_DF16_NS_16tensor_operation12element_wise11PassThroughES9_S9_LNS7_6device18GemmSpecializationE0ELi128ELi16ELi128ELi128ELi8ELi32ELi16ELi16ELi1ELi4ENS_8SequenceIJLi16ELi8ELi1EEEENSC_IJLi1ELi0ELi2EEEESE_Li2ELi8ELi8ELb0ELi0ENSC_IJLi4ELi32ELi1EEEESE_SE_Li2ELi32ELi32ELb0ELi0ELi1ELi1ENSC_IJLi1ELi16ELi1ELi8EEEELi4ELNS_26BlockGemmPipelineSchedulerE1ELNS_24BlockGemmPipelineVersionE1EDF16_DF16_Lb0ELb1ELb0ELi0ELb0EEELb1ELNS_25InMemoryDataOperationEnumE0ELi2ELNS_10TailNumberE10EEEvNT_8ArgumentE
                                        ; -- End function
	.set _ZN2ck27kernel_gemm_xdl_cshuffle_v3INS_28GridwiseGemm_xdl_cshuffle_v3INS_13tensor_layout4gemm8RowMajorENS3_11ColumnMajorES4_DF16_NS_7pk_i4_tEfDF16_DF16_NS_16tensor_operation12element_wise11PassThroughES9_S9_LNS7_6device18GemmSpecializationE0ELi128ELi16ELi128ELi128ELi8ELi32ELi16ELi16ELi1ELi4ENS_8SequenceIJLi16ELi8ELi1EEEENSC_IJLi1ELi0ELi2EEEESE_Li2ELi8ELi8ELb0ELi0ENSC_IJLi4ELi32ELi1EEEESE_SE_Li2ELi32ELi32ELb0ELi0ELi1ELi1ENSC_IJLi1ELi16ELi1ELi8EEEELi4ELNS_26BlockGemmPipelineSchedulerE1ELNS_24BlockGemmPipelineVersionE1EDF16_DF16_Lb0ELb1ELb0ELi0ELb0EEELb1ELNS_25InMemoryDataOperationEnumE0ELi2ELNS_10TailNumberE10EEEvNT_8ArgumentE.num_vgpr, 163
	.set _ZN2ck27kernel_gemm_xdl_cshuffle_v3INS_28GridwiseGemm_xdl_cshuffle_v3INS_13tensor_layout4gemm8RowMajorENS3_11ColumnMajorES4_DF16_NS_7pk_i4_tEfDF16_DF16_NS_16tensor_operation12element_wise11PassThroughES9_S9_LNS7_6device18GemmSpecializationE0ELi128ELi16ELi128ELi128ELi8ELi32ELi16ELi16ELi1ELi4ENS_8SequenceIJLi16ELi8ELi1EEEENSC_IJLi1ELi0ELi2EEEESE_Li2ELi8ELi8ELb0ELi0ENSC_IJLi4ELi32ELi1EEEESE_SE_Li2ELi32ELi32ELb0ELi0ELi1ELi1ENSC_IJLi1ELi16ELi1ELi8EEEELi4ELNS_26BlockGemmPipelineSchedulerE1ELNS_24BlockGemmPipelineVersionE1EDF16_DF16_Lb0ELb1ELb0ELi0ELb0EEELb1ELNS_25InMemoryDataOperationEnumE0ELi2ELNS_10TailNumberE10EEEvNT_8ArgumentE.num_agpr, 0
	.set _ZN2ck27kernel_gemm_xdl_cshuffle_v3INS_28GridwiseGemm_xdl_cshuffle_v3INS_13tensor_layout4gemm8RowMajorENS3_11ColumnMajorES4_DF16_NS_7pk_i4_tEfDF16_DF16_NS_16tensor_operation12element_wise11PassThroughES9_S9_LNS7_6device18GemmSpecializationE0ELi128ELi16ELi128ELi128ELi8ELi32ELi16ELi16ELi1ELi4ENS_8SequenceIJLi16ELi8ELi1EEEENSC_IJLi1ELi0ELi2EEEESE_Li2ELi8ELi8ELb0ELi0ENSC_IJLi4ELi32ELi1EEEESE_SE_Li2ELi32ELi32ELb0ELi0ELi1ELi1ENSC_IJLi1ELi16ELi1ELi8EEEELi4ELNS_26BlockGemmPipelineSchedulerE1ELNS_24BlockGemmPipelineVersionE1EDF16_DF16_Lb0ELb1ELb0ELi0ELb0EEELb1ELNS_25InMemoryDataOperationEnumE0ELi2ELNS_10TailNumberE10EEEvNT_8ArgumentE.numbered_sgpr, 30
	.set _ZN2ck27kernel_gemm_xdl_cshuffle_v3INS_28GridwiseGemm_xdl_cshuffle_v3INS_13tensor_layout4gemm8RowMajorENS3_11ColumnMajorES4_DF16_NS_7pk_i4_tEfDF16_DF16_NS_16tensor_operation12element_wise11PassThroughES9_S9_LNS7_6device18GemmSpecializationE0ELi128ELi16ELi128ELi128ELi8ELi32ELi16ELi16ELi1ELi4ENS_8SequenceIJLi16ELi8ELi1EEEENSC_IJLi1ELi0ELi2EEEESE_Li2ELi8ELi8ELb0ELi0ENSC_IJLi4ELi32ELi1EEEESE_SE_Li2ELi32ELi32ELb0ELi0ELi1ELi1ENSC_IJLi1ELi16ELi1ELi8EEEELi4ELNS_26BlockGemmPipelineSchedulerE1ELNS_24BlockGemmPipelineVersionE1EDF16_DF16_Lb0ELb1ELb0ELi0ELb0EEELb1ELNS_25InMemoryDataOperationEnumE0ELi2ELNS_10TailNumberE10EEEvNT_8ArgumentE.num_named_barrier, 0
	.set _ZN2ck27kernel_gemm_xdl_cshuffle_v3INS_28GridwiseGemm_xdl_cshuffle_v3INS_13tensor_layout4gemm8RowMajorENS3_11ColumnMajorES4_DF16_NS_7pk_i4_tEfDF16_DF16_NS_16tensor_operation12element_wise11PassThroughES9_S9_LNS7_6device18GemmSpecializationE0ELi128ELi16ELi128ELi128ELi8ELi32ELi16ELi16ELi1ELi4ENS_8SequenceIJLi16ELi8ELi1EEEENSC_IJLi1ELi0ELi2EEEESE_Li2ELi8ELi8ELb0ELi0ENSC_IJLi4ELi32ELi1EEEESE_SE_Li2ELi32ELi32ELb0ELi0ELi1ELi1ENSC_IJLi1ELi16ELi1ELi8EEEELi4ELNS_26BlockGemmPipelineSchedulerE1ELNS_24BlockGemmPipelineVersionE1EDF16_DF16_Lb0ELb1ELb0ELi0ELb0EEELb1ELNS_25InMemoryDataOperationEnumE0ELi2ELNS_10TailNumberE10EEEvNT_8ArgumentE.private_seg_size, 0
	.set _ZN2ck27kernel_gemm_xdl_cshuffle_v3INS_28GridwiseGemm_xdl_cshuffle_v3INS_13tensor_layout4gemm8RowMajorENS3_11ColumnMajorES4_DF16_NS_7pk_i4_tEfDF16_DF16_NS_16tensor_operation12element_wise11PassThroughES9_S9_LNS7_6device18GemmSpecializationE0ELi128ELi16ELi128ELi128ELi8ELi32ELi16ELi16ELi1ELi4ENS_8SequenceIJLi16ELi8ELi1EEEENSC_IJLi1ELi0ELi2EEEESE_Li2ELi8ELi8ELb0ELi0ENSC_IJLi4ELi32ELi1EEEESE_SE_Li2ELi32ELi32ELb0ELi0ELi1ELi1ENSC_IJLi1ELi16ELi1ELi8EEEELi4ELNS_26BlockGemmPipelineSchedulerE1ELNS_24BlockGemmPipelineVersionE1EDF16_DF16_Lb0ELb1ELb0ELi0ELb0EEELb1ELNS_25InMemoryDataOperationEnumE0ELi2ELNS_10TailNumberE10EEEvNT_8ArgumentE.uses_vcc, 1
	.set _ZN2ck27kernel_gemm_xdl_cshuffle_v3INS_28GridwiseGemm_xdl_cshuffle_v3INS_13tensor_layout4gemm8RowMajorENS3_11ColumnMajorES4_DF16_NS_7pk_i4_tEfDF16_DF16_NS_16tensor_operation12element_wise11PassThroughES9_S9_LNS7_6device18GemmSpecializationE0ELi128ELi16ELi128ELi128ELi8ELi32ELi16ELi16ELi1ELi4ENS_8SequenceIJLi16ELi8ELi1EEEENSC_IJLi1ELi0ELi2EEEESE_Li2ELi8ELi8ELb0ELi0ENSC_IJLi4ELi32ELi1EEEESE_SE_Li2ELi32ELi32ELb0ELi0ELi1ELi1ENSC_IJLi1ELi16ELi1ELi8EEEELi4ELNS_26BlockGemmPipelineSchedulerE1ELNS_24BlockGemmPipelineVersionE1EDF16_DF16_Lb0ELb1ELb0ELi0ELb0EEELb1ELNS_25InMemoryDataOperationEnumE0ELi2ELNS_10TailNumberE10EEEvNT_8ArgumentE.uses_flat_scratch, 0
	.set _ZN2ck27kernel_gemm_xdl_cshuffle_v3INS_28GridwiseGemm_xdl_cshuffle_v3INS_13tensor_layout4gemm8RowMajorENS3_11ColumnMajorES4_DF16_NS_7pk_i4_tEfDF16_DF16_NS_16tensor_operation12element_wise11PassThroughES9_S9_LNS7_6device18GemmSpecializationE0ELi128ELi16ELi128ELi128ELi8ELi32ELi16ELi16ELi1ELi4ENS_8SequenceIJLi16ELi8ELi1EEEENSC_IJLi1ELi0ELi2EEEESE_Li2ELi8ELi8ELb0ELi0ENSC_IJLi4ELi32ELi1EEEESE_SE_Li2ELi32ELi32ELb0ELi0ELi1ELi1ENSC_IJLi1ELi16ELi1ELi8EEEELi4ELNS_26BlockGemmPipelineSchedulerE1ELNS_24BlockGemmPipelineVersionE1EDF16_DF16_Lb0ELb1ELb0ELi0ELb0EEELb1ELNS_25InMemoryDataOperationEnumE0ELi2ELNS_10TailNumberE10EEEvNT_8ArgumentE.has_dyn_sized_stack, 0
	.set _ZN2ck27kernel_gemm_xdl_cshuffle_v3INS_28GridwiseGemm_xdl_cshuffle_v3INS_13tensor_layout4gemm8RowMajorENS3_11ColumnMajorES4_DF16_NS_7pk_i4_tEfDF16_DF16_NS_16tensor_operation12element_wise11PassThroughES9_S9_LNS7_6device18GemmSpecializationE0ELi128ELi16ELi128ELi128ELi8ELi32ELi16ELi16ELi1ELi4ENS_8SequenceIJLi16ELi8ELi1EEEENSC_IJLi1ELi0ELi2EEEESE_Li2ELi8ELi8ELb0ELi0ENSC_IJLi4ELi32ELi1EEEESE_SE_Li2ELi32ELi32ELb0ELi0ELi1ELi1ENSC_IJLi1ELi16ELi1ELi8EEEELi4ELNS_26BlockGemmPipelineSchedulerE1ELNS_24BlockGemmPipelineVersionE1EDF16_DF16_Lb0ELb1ELb0ELi0ELb0EEELb1ELNS_25InMemoryDataOperationEnumE0ELi2ELNS_10TailNumberE10EEEvNT_8ArgumentE.has_recursion, 0
	.set _ZN2ck27kernel_gemm_xdl_cshuffle_v3INS_28GridwiseGemm_xdl_cshuffle_v3INS_13tensor_layout4gemm8RowMajorENS3_11ColumnMajorES4_DF16_NS_7pk_i4_tEfDF16_DF16_NS_16tensor_operation12element_wise11PassThroughES9_S9_LNS7_6device18GemmSpecializationE0ELi128ELi16ELi128ELi128ELi8ELi32ELi16ELi16ELi1ELi4ENS_8SequenceIJLi16ELi8ELi1EEEENSC_IJLi1ELi0ELi2EEEESE_Li2ELi8ELi8ELb0ELi0ENSC_IJLi4ELi32ELi1EEEESE_SE_Li2ELi32ELi32ELb0ELi0ELi1ELi1ENSC_IJLi1ELi16ELi1ELi8EEEELi4ELNS_26BlockGemmPipelineSchedulerE1ELNS_24BlockGemmPipelineVersionE1EDF16_DF16_Lb0ELb1ELb0ELi0ELb0EEELb1ELNS_25InMemoryDataOperationEnumE0ELi2ELNS_10TailNumberE10EEEvNT_8ArgumentE.has_indirect_call, 0
	.section	.AMDGPU.csdata,"",@progbits
; Kernel info:
; codeLenInByte = 12828
; TotalNumSgprs: 36
; NumVgprs: 163
; NumAgprs: 0
; TotalNumVgprs: 163
; ScratchSize: 0
; MemoryBound: 0
; FloatMode: 240
; IeeeMode: 1
; LDSByteSize: 12288 bytes/workgroup (compile time only)
; SGPRBlocks: 10
; VGPRBlocks: 20
; NumSGPRsForWavesPerEU: 81
; NumVGPRsForWavesPerEU: 163
; AccumOffset: 164
; Occupancy: 3
; WaveLimiterHint : 0
; COMPUTE_PGM_RSRC2:SCRATCH_EN: 0
; COMPUTE_PGM_RSRC2:USER_SGPR: 2
; COMPUTE_PGM_RSRC2:TRAP_HANDLER: 0
; COMPUTE_PGM_RSRC2:TGID_X_EN: 1
; COMPUTE_PGM_RSRC2:TGID_Y_EN: 0
; COMPUTE_PGM_RSRC2:TGID_Z_EN: 1
; COMPUTE_PGM_RSRC2:TIDIG_COMP_CNT: 0
; COMPUTE_PGM_RSRC3_GFX90A:ACCUM_OFFSET: 40
; COMPUTE_PGM_RSRC3_GFX90A:TG_SPLIT: 0
	.section	.text._ZN2ck27kernel_gemm_xdl_cshuffle_v3INS_28GridwiseGemm_xdl_cshuffle_v3INS_13tensor_layout4gemm8RowMajorENS3_11ColumnMajorES4_DF16_NS_7pk_i4_tEfDF16_DF16_NS_16tensor_operation12element_wise11PassThroughES9_S9_LNS7_6device18GemmSpecializationE0ELi128ELi16ELi128ELi128ELi8ELi32ELi16ELi16ELi1ELi2ENS_8SequenceIJLi16ELi8ELi1EEEENSC_IJLi1ELi0ELi2EEEESE_Li2ELi8ELi8ELb0ELi0ENSC_IJLi4ELi32ELi1EEEESE_SE_Li2ELi32ELi32ELb0ELi0ELi1ELi1ENSC_IJLi1ELi16ELi1ELi8EEEELi4ELNS_26BlockGemmPipelineSchedulerE1ELNS_24BlockGemmPipelineVersionE1EDF16_DF16_Lb0ELb1ELb0ELi0ELb0EEELb1ELNS_25InMemoryDataOperationEnumE1ELi2ELNS_10TailNumberE2EEEvNT_8ArgumentE,"axG",@progbits,_ZN2ck27kernel_gemm_xdl_cshuffle_v3INS_28GridwiseGemm_xdl_cshuffle_v3INS_13tensor_layout4gemm8RowMajorENS3_11ColumnMajorES4_DF16_NS_7pk_i4_tEfDF16_DF16_NS_16tensor_operation12element_wise11PassThroughES9_S9_LNS7_6device18GemmSpecializationE0ELi128ELi16ELi128ELi128ELi8ELi32ELi16ELi16ELi1ELi2ENS_8SequenceIJLi16ELi8ELi1EEEENSC_IJLi1ELi0ELi2EEEESE_Li2ELi8ELi8ELb0ELi0ENSC_IJLi4ELi32ELi1EEEESE_SE_Li2ELi32ELi32ELb0ELi0ELi1ELi1ENSC_IJLi1ELi16ELi1ELi8EEEELi4ELNS_26BlockGemmPipelineSchedulerE1ELNS_24BlockGemmPipelineVersionE1EDF16_DF16_Lb0ELb1ELb0ELi0ELb0EEELb1ELNS_25InMemoryDataOperationEnumE1ELi2ELNS_10TailNumberE2EEEvNT_8ArgumentE,comdat
	.protected	_ZN2ck27kernel_gemm_xdl_cshuffle_v3INS_28GridwiseGemm_xdl_cshuffle_v3INS_13tensor_layout4gemm8RowMajorENS3_11ColumnMajorES4_DF16_NS_7pk_i4_tEfDF16_DF16_NS_16tensor_operation12element_wise11PassThroughES9_S9_LNS7_6device18GemmSpecializationE0ELi128ELi16ELi128ELi128ELi8ELi32ELi16ELi16ELi1ELi2ENS_8SequenceIJLi16ELi8ELi1EEEENSC_IJLi1ELi0ELi2EEEESE_Li2ELi8ELi8ELb0ELi0ENSC_IJLi4ELi32ELi1EEEESE_SE_Li2ELi32ELi32ELb0ELi0ELi1ELi1ENSC_IJLi1ELi16ELi1ELi8EEEELi4ELNS_26BlockGemmPipelineSchedulerE1ELNS_24BlockGemmPipelineVersionE1EDF16_DF16_Lb0ELb1ELb0ELi0ELb0EEELb1ELNS_25InMemoryDataOperationEnumE1ELi2ELNS_10TailNumberE2EEEvNT_8ArgumentE ; -- Begin function _ZN2ck27kernel_gemm_xdl_cshuffle_v3INS_28GridwiseGemm_xdl_cshuffle_v3INS_13tensor_layout4gemm8RowMajorENS3_11ColumnMajorES4_DF16_NS_7pk_i4_tEfDF16_DF16_NS_16tensor_operation12element_wise11PassThroughES9_S9_LNS7_6device18GemmSpecializationE0ELi128ELi16ELi128ELi128ELi8ELi32ELi16ELi16ELi1ELi2ENS_8SequenceIJLi16ELi8ELi1EEEENSC_IJLi1ELi0ELi2EEEESE_Li2ELi8ELi8ELb0ELi0ENSC_IJLi4ELi32ELi1EEEESE_SE_Li2ELi32ELi32ELb0ELi0ELi1ELi1ENSC_IJLi1ELi16ELi1ELi8EEEELi4ELNS_26BlockGemmPipelineSchedulerE1ELNS_24BlockGemmPipelineVersionE1EDF16_DF16_Lb0ELb1ELb0ELi0ELb0EEELb1ELNS_25InMemoryDataOperationEnumE1ELi2ELNS_10TailNumberE2EEEvNT_8ArgumentE
	.globl	_ZN2ck27kernel_gemm_xdl_cshuffle_v3INS_28GridwiseGemm_xdl_cshuffle_v3INS_13tensor_layout4gemm8RowMajorENS3_11ColumnMajorES4_DF16_NS_7pk_i4_tEfDF16_DF16_NS_16tensor_operation12element_wise11PassThroughES9_S9_LNS7_6device18GemmSpecializationE0ELi128ELi16ELi128ELi128ELi8ELi32ELi16ELi16ELi1ELi2ENS_8SequenceIJLi16ELi8ELi1EEEENSC_IJLi1ELi0ELi2EEEESE_Li2ELi8ELi8ELb0ELi0ENSC_IJLi4ELi32ELi1EEEESE_SE_Li2ELi32ELi32ELb0ELi0ELi1ELi1ENSC_IJLi1ELi16ELi1ELi8EEEELi4ELNS_26BlockGemmPipelineSchedulerE1ELNS_24BlockGemmPipelineVersionE1EDF16_DF16_Lb0ELb1ELb0ELi0ELb0EEELb1ELNS_25InMemoryDataOperationEnumE1ELi2ELNS_10TailNumberE2EEEvNT_8ArgumentE
	.p2align	8
	.type	_ZN2ck27kernel_gemm_xdl_cshuffle_v3INS_28GridwiseGemm_xdl_cshuffle_v3INS_13tensor_layout4gemm8RowMajorENS3_11ColumnMajorES4_DF16_NS_7pk_i4_tEfDF16_DF16_NS_16tensor_operation12element_wise11PassThroughES9_S9_LNS7_6device18GemmSpecializationE0ELi128ELi16ELi128ELi128ELi8ELi32ELi16ELi16ELi1ELi2ENS_8SequenceIJLi16ELi8ELi1EEEENSC_IJLi1ELi0ELi2EEEESE_Li2ELi8ELi8ELb0ELi0ENSC_IJLi4ELi32ELi1EEEESE_SE_Li2ELi32ELi32ELb0ELi0ELi1ELi1ENSC_IJLi1ELi16ELi1ELi8EEEELi4ELNS_26BlockGemmPipelineSchedulerE1ELNS_24BlockGemmPipelineVersionE1EDF16_DF16_Lb0ELb1ELb0ELi0ELb0EEELb1ELNS_25InMemoryDataOperationEnumE1ELi2ELNS_10TailNumberE2EEEvNT_8ArgumentE,@function
_ZN2ck27kernel_gemm_xdl_cshuffle_v3INS_28GridwiseGemm_xdl_cshuffle_v3INS_13tensor_layout4gemm8RowMajorENS3_11ColumnMajorES4_DF16_NS_7pk_i4_tEfDF16_DF16_NS_16tensor_operation12element_wise11PassThroughES9_S9_LNS7_6device18GemmSpecializationE0ELi128ELi16ELi128ELi128ELi8ELi32ELi16ELi16ELi1ELi2ENS_8SequenceIJLi16ELi8ELi1EEEENSC_IJLi1ELi0ELi2EEEESE_Li2ELi8ELi8ELb0ELi0ENSC_IJLi4ELi32ELi1EEEESE_SE_Li2ELi32ELi32ELb0ELi0ELi1ELi1ENSC_IJLi1ELi16ELi1ELi8EEEELi4ELNS_26BlockGemmPipelineSchedulerE1ELNS_24BlockGemmPipelineVersionE1EDF16_DF16_Lb0ELb1ELb0ELi0ELb0EEELb1ELNS_25InMemoryDataOperationEnumE1ELi2ELNS_10TailNumberE2EEEvNT_8ArgumentE: ; @_ZN2ck27kernel_gemm_xdl_cshuffle_v3INS_28GridwiseGemm_xdl_cshuffle_v3INS_13tensor_layout4gemm8RowMajorENS3_11ColumnMajorES4_DF16_NS_7pk_i4_tEfDF16_DF16_NS_16tensor_operation12element_wise11PassThroughES9_S9_LNS7_6device18GemmSpecializationE0ELi128ELi16ELi128ELi128ELi8ELi32ELi16ELi16ELi1ELi2ENS_8SequenceIJLi16ELi8ELi1EEEENSC_IJLi1ELi0ELi2EEEESE_Li2ELi8ELi8ELb0ELi0ENSC_IJLi4ELi32ELi1EEEESE_SE_Li2ELi32ELi32ELb0ELi0ELi1ELi1ENSC_IJLi1ELi16ELi1ELi8EEEELi4ELNS_26BlockGemmPipelineSchedulerE1ELNS_24BlockGemmPipelineVersionE1EDF16_DF16_Lb0ELb1ELb0ELi0ELb0EEELb1ELNS_25InMemoryDataOperationEnumE1ELi2ELNS_10TailNumberE2EEEvNT_8ArgumentE
; %bb.0:
	s_endpgm
	.section	.rodata,"a",@progbits
	.p2align	6, 0x0
	.amdhsa_kernel _ZN2ck27kernel_gemm_xdl_cshuffle_v3INS_28GridwiseGemm_xdl_cshuffle_v3INS_13tensor_layout4gemm8RowMajorENS3_11ColumnMajorES4_DF16_NS_7pk_i4_tEfDF16_DF16_NS_16tensor_operation12element_wise11PassThroughES9_S9_LNS7_6device18GemmSpecializationE0ELi128ELi16ELi128ELi128ELi8ELi32ELi16ELi16ELi1ELi2ENS_8SequenceIJLi16ELi8ELi1EEEENSC_IJLi1ELi0ELi2EEEESE_Li2ELi8ELi8ELb0ELi0ENSC_IJLi4ELi32ELi1EEEESE_SE_Li2ELi32ELi32ELb0ELi0ELi1ELi1ENSC_IJLi1ELi16ELi1ELi8EEEELi4ELNS_26BlockGemmPipelineSchedulerE1ELNS_24BlockGemmPipelineVersionE1EDF16_DF16_Lb0ELb1ELb0ELi0ELb0EEELb1ELNS_25InMemoryDataOperationEnumE1ELi2ELNS_10TailNumberE2EEEvNT_8ArgumentE
		.amdhsa_group_segment_fixed_size 0
		.amdhsa_private_segment_fixed_size 0
		.amdhsa_kernarg_size 112
		.amdhsa_user_sgpr_count 2
		.amdhsa_user_sgpr_dispatch_ptr 0
		.amdhsa_user_sgpr_queue_ptr 0
		.amdhsa_user_sgpr_kernarg_segment_ptr 1
		.amdhsa_user_sgpr_dispatch_id 0
		.amdhsa_user_sgpr_kernarg_preload_length 0
		.amdhsa_user_sgpr_kernarg_preload_offset 0
		.amdhsa_user_sgpr_private_segment_size 0
		.amdhsa_uses_dynamic_stack 0
		.amdhsa_enable_private_segment 0
		.amdhsa_system_sgpr_workgroup_id_x 1
		.amdhsa_system_sgpr_workgroup_id_y 0
		.amdhsa_system_sgpr_workgroup_id_z 0
		.amdhsa_system_sgpr_workgroup_info 0
		.amdhsa_system_vgpr_workitem_id 0
		.amdhsa_next_free_vgpr 1
		.amdhsa_next_free_sgpr 0
		.amdhsa_accum_offset 4
		.amdhsa_reserve_vcc 0
		.amdhsa_float_round_mode_32 0
		.amdhsa_float_round_mode_16_64 0
		.amdhsa_float_denorm_mode_32 3
		.amdhsa_float_denorm_mode_16_64 3
		.amdhsa_dx10_clamp 1
		.amdhsa_ieee_mode 1
		.amdhsa_fp16_overflow 0
		.amdhsa_tg_split 0
		.amdhsa_exception_fp_ieee_invalid_op 0
		.amdhsa_exception_fp_denorm_src 0
		.amdhsa_exception_fp_ieee_div_zero 0
		.amdhsa_exception_fp_ieee_overflow 0
		.amdhsa_exception_fp_ieee_underflow 0
		.amdhsa_exception_fp_ieee_inexact 0
		.amdhsa_exception_int_div_zero 0
	.end_amdhsa_kernel
	.section	.text._ZN2ck27kernel_gemm_xdl_cshuffle_v3INS_28GridwiseGemm_xdl_cshuffle_v3INS_13tensor_layout4gemm8RowMajorENS3_11ColumnMajorES4_DF16_NS_7pk_i4_tEfDF16_DF16_NS_16tensor_operation12element_wise11PassThroughES9_S9_LNS7_6device18GemmSpecializationE0ELi128ELi16ELi128ELi128ELi8ELi32ELi16ELi16ELi1ELi2ENS_8SequenceIJLi16ELi8ELi1EEEENSC_IJLi1ELi0ELi2EEEESE_Li2ELi8ELi8ELb0ELi0ENSC_IJLi4ELi32ELi1EEEESE_SE_Li2ELi32ELi32ELb0ELi0ELi1ELi1ENSC_IJLi1ELi16ELi1ELi8EEEELi4ELNS_26BlockGemmPipelineSchedulerE1ELNS_24BlockGemmPipelineVersionE1EDF16_DF16_Lb0ELb1ELb0ELi0ELb0EEELb1ELNS_25InMemoryDataOperationEnumE1ELi2ELNS_10TailNumberE2EEEvNT_8ArgumentE,"axG",@progbits,_ZN2ck27kernel_gemm_xdl_cshuffle_v3INS_28GridwiseGemm_xdl_cshuffle_v3INS_13tensor_layout4gemm8RowMajorENS3_11ColumnMajorES4_DF16_NS_7pk_i4_tEfDF16_DF16_NS_16tensor_operation12element_wise11PassThroughES9_S9_LNS7_6device18GemmSpecializationE0ELi128ELi16ELi128ELi128ELi8ELi32ELi16ELi16ELi1ELi2ENS_8SequenceIJLi16ELi8ELi1EEEENSC_IJLi1ELi0ELi2EEEESE_Li2ELi8ELi8ELb0ELi0ENSC_IJLi4ELi32ELi1EEEESE_SE_Li2ELi32ELi32ELb0ELi0ELi1ELi1ENSC_IJLi1ELi16ELi1ELi8EEEELi4ELNS_26BlockGemmPipelineSchedulerE1ELNS_24BlockGemmPipelineVersionE1EDF16_DF16_Lb0ELb1ELb0ELi0ELb0EEELb1ELNS_25InMemoryDataOperationEnumE1ELi2ELNS_10TailNumberE2EEEvNT_8ArgumentE,comdat
.Lfunc_end5:
	.size	_ZN2ck27kernel_gemm_xdl_cshuffle_v3INS_28GridwiseGemm_xdl_cshuffle_v3INS_13tensor_layout4gemm8RowMajorENS3_11ColumnMajorES4_DF16_NS_7pk_i4_tEfDF16_DF16_NS_16tensor_operation12element_wise11PassThroughES9_S9_LNS7_6device18GemmSpecializationE0ELi128ELi16ELi128ELi128ELi8ELi32ELi16ELi16ELi1ELi2ENS_8SequenceIJLi16ELi8ELi1EEEENSC_IJLi1ELi0ELi2EEEESE_Li2ELi8ELi8ELb0ELi0ENSC_IJLi4ELi32ELi1EEEESE_SE_Li2ELi32ELi32ELb0ELi0ELi1ELi1ENSC_IJLi1ELi16ELi1ELi8EEEELi4ELNS_26BlockGemmPipelineSchedulerE1ELNS_24BlockGemmPipelineVersionE1EDF16_DF16_Lb0ELb1ELb0ELi0ELb0EEELb1ELNS_25InMemoryDataOperationEnumE1ELi2ELNS_10TailNumberE2EEEvNT_8ArgumentE, .Lfunc_end5-_ZN2ck27kernel_gemm_xdl_cshuffle_v3INS_28GridwiseGemm_xdl_cshuffle_v3INS_13tensor_layout4gemm8RowMajorENS3_11ColumnMajorES4_DF16_NS_7pk_i4_tEfDF16_DF16_NS_16tensor_operation12element_wise11PassThroughES9_S9_LNS7_6device18GemmSpecializationE0ELi128ELi16ELi128ELi128ELi8ELi32ELi16ELi16ELi1ELi2ENS_8SequenceIJLi16ELi8ELi1EEEENSC_IJLi1ELi0ELi2EEEESE_Li2ELi8ELi8ELb0ELi0ENSC_IJLi4ELi32ELi1EEEESE_SE_Li2ELi32ELi32ELb0ELi0ELi1ELi1ENSC_IJLi1ELi16ELi1ELi8EEEELi4ELNS_26BlockGemmPipelineSchedulerE1ELNS_24BlockGemmPipelineVersionE1EDF16_DF16_Lb0ELb1ELb0ELi0ELb0EEELb1ELNS_25InMemoryDataOperationEnumE1ELi2ELNS_10TailNumberE2EEEvNT_8ArgumentE
                                        ; -- End function
	.set _ZN2ck27kernel_gemm_xdl_cshuffle_v3INS_28GridwiseGemm_xdl_cshuffle_v3INS_13tensor_layout4gemm8RowMajorENS3_11ColumnMajorES4_DF16_NS_7pk_i4_tEfDF16_DF16_NS_16tensor_operation12element_wise11PassThroughES9_S9_LNS7_6device18GemmSpecializationE0ELi128ELi16ELi128ELi128ELi8ELi32ELi16ELi16ELi1ELi2ENS_8SequenceIJLi16ELi8ELi1EEEENSC_IJLi1ELi0ELi2EEEESE_Li2ELi8ELi8ELb0ELi0ENSC_IJLi4ELi32ELi1EEEESE_SE_Li2ELi32ELi32ELb0ELi0ELi1ELi1ENSC_IJLi1ELi16ELi1ELi8EEEELi4ELNS_26BlockGemmPipelineSchedulerE1ELNS_24BlockGemmPipelineVersionE1EDF16_DF16_Lb0ELb1ELb0ELi0ELb0EEELb1ELNS_25InMemoryDataOperationEnumE1ELi2ELNS_10TailNumberE2EEEvNT_8ArgumentE.num_vgpr, 0
	.set _ZN2ck27kernel_gemm_xdl_cshuffle_v3INS_28GridwiseGemm_xdl_cshuffle_v3INS_13tensor_layout4gemm8RowMajorENS3_11ColumnMajorES4_DF16_NS_7pk_i4_tEfDF16_DF16_NS_16tensor_operation12element_wise11PassThroughES9_S9_LNS7_6device18GemmSpecializationE0ELi128ELi16ELi128ELi128ELi8ELi32ELi16ELi16ELi1ELi2ENS_8SequenceIJLi16ELi8ELi1EEEENSC_IJLi1ELi0ELi2EEEESE_Li2ELi8ELi8ELb0ELi0ENSC_IJLi4ELi32ELi1EEEESE_SE_Li2ELi32ELi32ELb0ELi0ELi1ELi1ENSC_IJLi1ELi16ELi1ELi8EEEELi4ELNS_26BlockGemmPipelineSchedulerE1ELNS_24BlockGemmPipelineVersionE1EDF16_DF16_Lb0ELb1ELb0ELi0ELb0EEELb1ELNS_25InMemoryDataOperationEnumE1ELi2ELNS_10TailNumberE2EEEvNT_8ArgumentE.num_agpr, 0
	.set _ZN2ck27kernel_gemm_xdl_cshuffle_v3INS_28GridwiseGemm_xdl_cshuffle_v3INS_13tensor_layout4gemm8RowMajorENS3_11ColumnMajorES4_DF16_NS_7pk_i4_tEfDF16_DF16_NS_16tensor_operation12element_wise11PassThroughES9_S9_LNS7_6device18GemmSpecializationE0ELi128ELi16ELi128ELi128ELi8ELi32ELi16ELi16ELi1ELi2ENS_8SequenceIJLi16ELi8ELi1EEEENSC_IJLi1ELi0ELi2EEEESE_Li2ELi8ELi8ELb0ELi0ENSC_IJLi4ELi32ELi1EEEESE_SE_Li2ELi32ELi32ELb0ELi0ELi1ELi1ENSC_IJLi1ELi16ELi1ELi8EEEELi4ELNS_26BlockGemmPipelineSchedulerE1ELNS_24BlockGemmPipelineVersionE1EDF16_DF16_Lb0ELb1ELb0ELi0ELb0EEELb1ELNS_25InMemoryDataOperationEnumE1ELi2ELNS_10TailNumberE2EEEvNT_8ArgumentE.numbered_sgpr, 0
	.set _ZN2ck27kernel_gemm_xdl_cshuffle_v3INS_28GridwiseGemm_xdl_cshuffle_v3INS_13tensor_layout4gemm8RowMajorENS3_11ColumnMajorES4_DF16_NS_7pk_i4_tEfDF16_DF16_NS_16tensor_operation12element_wise11PassThroughES9_S9_LNS7_6device18GemmSpecializationE0ELi128ELi16ELi128ELi128ELi8ELi32ELi16ELi16ELi1ELi2ENS_8SequenceIJLi16ELi8ELi1EEEENSC_IJLi1ELi0ELi2EEEESE_Li2ELi8ELi8ELb0ELi0ENSC_IJLi4ELi32ELi1EEEESE_SE_Li2ELi32ELi32ELb0ELi0ELi1ELi1ENSC_IJLi1ELi16ELi1ELi8EEEELi4ELNS_26BlockGemmPipelineSchedulerE1ELNS_24BlockGemmPipelineVersionE1EDF16_DF16_Lb0ELb1ELb0ELi0ELb0EEELb1ELNS_25InMemoryDataOperationEnumE1ELi2ELNS_10TailNumberE2EEEvNT_8ArgumentE.num_named_barrier, 0
	.set _ZN2ck27kernel_gemm_xdl_cshuffle_v3INS_28GridwiseGemm_xdl_cshuffle_v3INS_13tensor_layout4gemm8RowMajorENS3_11ColumnMajorES4_DF16_NS_7pk_i4_tEfDF16_DF16_NS_16tensor_operation12element_wise11PassThroughES9_S9_LNS7_6device18GemmSpecializationE0ELi128ELi16ELi128ELi128ELi8ELi32ELi16ELi16ELi1ELi2ENS_8SequenceIJLi16ELi8ELi1EEEENSC_IJLi1ELi0ELi2EEEESE_Li2ELi8ELi8ELb0ELi0ENSC_IJLi4ELi32ELi1EEEESE_SE_Li2ELi32ELi32ELb0ELi0ELi1ELi1ENSC_IJLi1ELi16ELi1ELi8EEEELi4ELNS_26BlockGemmPipelineSchedulerE1ELNS_24BlockGemmPipelineVersionE1EDF16_DF16_Lb0ELb1ELb0ELi0ELb0EEELb1ELNS_25InMemoryDataOperationEnumE1ELi2ELNS_10TailNumberE2EEEvNT_8ArgumentE.private_seg_size, 0
	.set _ZN2ck27kernel_gemm_xdl_cshuffle_v3INS_28GridwiseGemm_xdl_cshuffle_v3INS_13tensor_layout4gemm8RowMajorENS3_11ColumnMajorES4_DF16_NS_7pk_i4_tEfDF16_DF16_NS_16tensor_operation12element_wise11PassThroughES9_S9_LNS7_6device18GemmSpecializationE0ELi128ELi16ELi128ELi128ELi8ELi32ELi16ELi16ELi1ELi2ENS_8SequenceIJLi16ELi8ELi1EEEENSC_IJLi1ELi0ELi2EEEESE_Li2ELi8ELi8ELb0ELi0ENSC_IJLi4ELi32ELi1EEEESE_SE_Li2ELi32ELi32ELb0ELi0ELi1ELi1ENSC_IJLi1ELi16ELi1ELi8EEEELi4ELNS_26BlockGemmPipelineSchedulerE1ELNS_24BlockGemmPipelineVersionE1EDF16_DF16_Lb0ELb1ELb0ELi0ELb0EEELb1ELNS_25InMemoryDataOperationEnumE1ELi2ELNS_10TailNumberE2EEEvNT_8ArgumentE.uses_vcc, 0
	.set _ZN2ck27kernel_gemm_xdl_cshuffle_v3INS_28GridwiseGemm_xdl_cshuffle_v3INS_13tensor_layout4gemm8RowMajorENS3_11ColumnMajorES4_DF16_NS_7pk_i4_tEfDF16_DF16_NS_16tensor_operation12element_wise11PassThroughES9_S9_LNS7_6device18GemmSpecializationE0ELi128ELi16ELi128ELi128ELi8ELi32ELi16ELi16ELi1ELi2ENS_8SequenceIJLi16ELi8ELi1EEEENSC_IJLi1ELi0ELi2EEEESE_Li2ELi8ELi8ELb0ELi0ENSC_IJLi4ELi32ELi1EEEESE_SE_Li2ELi32ELi32ELb0ELi0ELi1ELi1ENSC_IJLi1ELi16ELi1ELi8EEEELi4ELNS_26BlockGemmPipelineSchedulerE1ELNS_24BlockGemmPipelineVersionE1EDF16_DF16_Lb0ELb1ELb0ELi0ELb0EEELb1ELNS_25InMemoryDataOperationEnumE1ELi2ELNS_10TailNumberE2EEEvNT_8ArgumentE.uses_flat_scratch, 0
	.set _ZN2ck27kernel_gemm_xdl_cshuffle_v3INS_28GridwiseGemm_xdl_cshuffle_v3INS_13tensor_layout4gemm8RowMajorENS3_11ColumnMajorES4_DF16_NS_7pk_i4_tEfDF16_DF16_NS_16tensor_operation12element_wise11PassThroughES9_S9_LNS7_6device18GemmSpecializationE0ELi128ELi16ELi128ELi128ELi8ELi32ELi16ELi16ELi1ELi2ENS_8SequenceIJLi16ELi8ELi1EEEENSC_IJLi1ELi0ELi2EEEESE_Li2ELi8ELi8ELb0ELi0ENSC_IJLi4ELi32ELi1EEEESE_SE_Li2ELi32ELi32ELb0ELi0ELi1ELi1ENSC_IJLi1ELi16ELi1ELi8EEEELi4ELNS_26BlockGemmPipelineSchedulerE1ELNS_24BlockGemmPipelineVersionE1EDF16_DF16_Lb0ELb1ELb0ELi0ELb0EEELb1ELNS_25InMemoryDataOperationEnumE1ELi2ELNS_10TailNumberE2EEEvNT_8ArgumentE.has_dyn_sized_stack, 0
	.set _ZN2ck27kernel_gemm_xdl_cshuffle_v3INS_28GridwiseGemm_xdl_cshuffle_v3INS_13tensor_layout4gemm8RowMajorENS3_11ColumnMajorES4_DF16_NS_7pk_i4_tEfDF16_DF16_NS_16tensor_operation12element_wise11PassThroughES9_S9_LNS7_6device18GemmSpecializationE0ELi128ELi16ELi128ELi128ELi8ELi32ELi16ELi16ELi1ELi2ENS_8SequenceIJLi16ELi8ELi1EEEENSC_IJLi1ELi0ELi2EEEESE_Li2ELi8ELi8ELb0ELi0ENSC_IJLi4ELi32ELi1EEEESE_SE_Li2ELi32ELi32ELb0ELi0ELi1ELi1ENSC_IJLi1ELi16ELi1ELi8EEEELi4ELNS_26BlockGemmPipelineSchedulerE1ELNS_24BlockGemmPipelineVersionE1EDF16_DF16_Lb0ELb1ELb0ELi0ELb0EEELb1ELNS_25InMemoryDataOperationEnumE1ELi2ELNS_10TailNumberE2EEEvNT_8ArgumentE.has_recursion, 0
	.set _ZN2ck27kernel_gemm_xdl_cshuffle_v3INS_28GridwiseGemm_xdl_cshuffle_v3INS_13tensor_layout4gemm8RowMajorENS3_11ColumnMajorES4_DF16_NS_7pk_i4_tEfDF16_DF16_NS_16tensor_operation12element_wise11PassThroughES9_S9_LNS7_6device18GemmSpecializationE0ELi128ELi16ELi128ELi128ELi8ELi32ELi16ELi16ELi1ELi2ENS_8SequenceIJLi16ELi8ELi1EEEENSC_IJLi1ELi0ELi2EEEESE_Li2ELi8ELi8ELb0ELi0ENSC_IJLi4ELi32ELi1EEEESE_SE_Li2ELi32ELi32ELb0ELi0ELi1ELi1ENSC_IJLi1ELi16ELi1ELi8EEEELi4ELNS_26BlockGemmPipelineSchedulerE1ELNS_24BlockGemmPipelineVersionE1EDF16_DF16_Lb0ELb1ELb0ELi0ELb0EEELb1ELNS_25InMemoryDataOperationEnumE1ELi2ELNS_10TailNumberE2EEEvNT_8ArgumentE.has_indirect_call, 0
	.section	.AMDGPU.csdata,"",@progbits
; Kernel info:
; codeLenInByte = 4
; TotalNumSgprs: 6
; NumVgprs: 0
; NumAgprs: 0
; TotalNumVgprs: 0
; ScratchSize: 0
; MemoryBound: 0
; FloatMode: 240
; IeeeMode: 1
; LDSByteSize: 0 bytes/workgroup (compile time only)
; SGPRBlocks: 0
; VGPRBlocks: 0
; NumSGPRsForWavesPerEU: 6
; NumVGPRsForWavesPerEU: 1
; AccumOffset: 4
; Occupancy: 8
; WaveLimiterHint : 0
; COMPUTE_PGM_RSRC2:SCRATCH_EN: 0
; COMPUTE_PGM_RSRC2:USER_SGPR: 2
; COMPUTE_PGM_RSRC2:TRAP_HANDLER: 0
; COMPUTE_PGM_RSRC2:TGID_X_EN: 1
; COMPUTE_PGM_RSRC2:TGID_Y_EN: 0
; COMPUTE_PGM_RSRC2:TGID_Z_EN: 0
; COMPUTE_PGM_RSRC2:TIDIG_COMP_CNT: 0
; COMPUTE_PGM_RSRC3_GFX90A:ACCUM_OFFSET: 0
; COMPUTE_PGM_RSRC3_GFX90A:TG_SPLIT: 0
	.section	.text._ZN2ck27kernel_gemm_xdl_cshuffle_v3INS_28GridwiseGemm_xdl_cshuffle_v3INS_13tensor_layout4gemm8RowMajorENS3_11ColumnMajorES4_DF16_NS_7pk_i4_tEfDF16_DF16_NS_16tensor_operation12element_wise11PassThroughES9_S9_LNS7_6device18GemmSpecializationE0ELi128ELi16ELi128ELi128ELi8ELi32ELi16ELi16ELi1ELi2ENS_8SequenceIJLi16ELi8ELi1EEEENSC_IJLi1ELi0ELi2EEEESE_Li2ELi8ELi8ELb0ELi0ENSC_IJLi4ELi32ELi1EEEESE_SE_Li2ELi32ELi32ELb0ELi0ELi1ELi1ENSC_IJLi1ELi16ELi1ELi8EEEELi4ELNS_26BlockGemmPipelineSchedulerE1ELNS_24BlockGemmPipelineVersionE1EDF16_DF16_Lb0ELb1ELb0ELi0ELb0EEELb1ELNS_25InMemoryDataOperationEnumE1ELi2ELNS_10TailNumberE10EEEvNT_8ArgumentE,"axG",@progbits,_ZN2ck27kernel_gemm_xdl_cshuffle_v3INS_28GridwiseGemm_xdl_cshuffle_v3INS_13tensor_layout4gemm8RowMajorENS3_11ColumnMajorES4_DF16_NS_7pk_i4_tEfDF16_DF16_NS_16tensor_operation12element_wise11PassThroughES9_S9_LNS7_6device18GemmSpecializationE0ELi128ELi16ELi128ELi128ELi8ELi32ELi16ELi16ELi1ELi2ENS_8SequenceIJLi16ELi8ELi1EEEENSC_IJLi1ELi0ELi2EEEESE_Li2ELi8ELi8ELb0ELi0ENSC_IJLi4ELi32ELi1EEEESE_SE_Li2ELi32ELi32ELb0ELi0ELi1ELi1ENSC_IJLi1ELi16ELi1ELi8EEEELi4ELNS_26BlockGemmPipelineSchedulerE1ELNS_24BlockGemmPipelineVersionE1EDF16_DF16_Lb0ELb1ELb0ELi0ELb0EEELb1ELNS_25InMemoryDataOperationEnumE1ELi2ELNS_10TailNumberE10EEEvNT_8ArgumentE,comdat
	.protected	_ZN2ck27kernel_gemm_xdl_cshuffle_v3INS_28GridwiseGemm_xdl_cshuffle_v3INS_13tensor_layout4gemm8RowMajorENS3_11ColumnMajorES4_DF16_NS_7pk_i4_tEfDF16_DF16_NS_16tensor_operation12element_wise11PassThroughES9_S9_LNS7_6device18GemmSpecializationE0ELi128ELi16ELi128ELi128ELi8ELi32ELi16ELi16ELi1ELi2ENS_8SequenceIJLi16ELi8ELi1EEEENSC_IJLi1ELi0ELi2EEEESE_Li2ELi8ELi8ELb0ELi0ENSC_IJLi4ELi32ELi1EEEESE_SE_Li2ELi32ELi32ELb0ELi0ELi1ELi1ENSC_IJLi1ELi16ELi1ELi8EEEELi4ELNS_26BlockGemmPipelineSchedulerE1ELNS_24BlockGemmPipelineVersionE1EDF16_DF16_Lb0ELb1ELb0ELi0ELb0EEELb1ELNS_25InMemoryDataOperationEnumE1ELi2ELNS_10TailNumberE10EEEvNT_8ArgumentE ; -- Begin function _ZN2ck27kernel_gemm_xdl_cshuffle_v3INS_28GridwiseGemm_xdl_cshuffle_v3INS_13tensor_layout4gemm8RowMajorENS3_11ColumnMajorES4_DF16_NS_7pk_i4_tEfDF16_DF16_NS_16tensor_operation12element_wise11PassThroughES9_S9_LNS7_6device18GemmSpecializationE0ELi128ELi16ELi128ELi128ELi8ELi32ELi16ELi16ELi1ELi2ENS_8SequenceIJLi16ELi8ELi1EEEENSC_IJLi1ELi0ELi2EEEESE_Li2ELi8ELi8ELb0ELi0ENSC_IJLi4ELi32ELi1EEEESE_SE_Li2ELi32ELi32ELb0ELi0ELi1ELi1ENSC_IJLi1ELi16ELi1ELi8EEEELi4ELNS_26BlockGemmPipelineSchedulerE1ELNS_24BlockGemmPipelineVersionE1EDF16_DF16_Lb0ELb1ELb0ELi0ELb0EEELb1ELNS_25InMemoryDataOperationEnumE1ELi2ELNS_10TailNumberE10EEEvNT_8ArgumentE
	.globl	_ZN2ck27kernel_gemm_xdl_cshuffle_v3INS_28GridwiseGemm_xdl_cshuffle_v3INS_13tensor_layout4gemm8RowMajorENS3_11ColumnMajorES4_DF16_NS_7pk_i4_tEfDF16_DF16_NS_16tensor_operation12element_wise11PassThroughES9_S9_LNS7_6device18GemmSpecializationE0ELi128ELi16ELi128ELi128ELi8ELi32ELi16ELi16ELi1ELi2ENS_8SequenceIJLi16ELi8ELi1EEEENSC_IJLi1ELi0ELi2EEEESE_Li2ELi8ELi8ELb0ELi0ENSC_IJLi4ELi32ELi1EEEESE_SE_Li2ELi32ELi32ELb0ELi0ELi1ELi1ENSC_IJLi1ELi16ELi1ELi8EEEELi4ELNS_26BlockGemmPipelineSchedulerE1ELNS_24BlockGemmPipelineVersionE1EDF16_DF16_Lb0ELb1ELb0ELi0ELb0EEELb1ELNS_25InMemoryDataOperationEnumE1ELi2ELNS_10TailNumberE10EEEvNT_8ArgumentE
	.p2align	8
	.type	_ZN2ck27kernel_gemm_xdl_cshuffle_v3INS_28GridwiseGemm_xdl_cshuffle_v3INS_13tensor_layout4gemm8RowMajorENS3_11ColumnMajorES4_DF16_NS_7pk_i4_tEfDF16_DF16_NS_16tensor_operation12element_wise11PassThroughES9_S9_LNS7_6device18GemmSpecializationE0ELi128ELi16ELi128ELi128ELi8ELi32ELi16ELi16ELi1ELi2ENS_8SequenceIJLi16ELi8ELi1EEEENSC_IJLi1ELi0ELi2EEEESE_Li2ELi8ELi8ELb0ELi0ENSC_IJLi4ELi32ELi1EEEESE_SE_Li2ELi32ELi32ELb0ELi0ELi1ELi1ENSC_IJLi1ELi16ELi1ELi8EEEELi4ELNS_26BlockGemmPipelineSchedulerE1ELNS_24BlockGemmPipelineVersionE1EDF16_DF16_Lb0ELb1ELb0ELi0ELb0EEELb1ELNS_25InMemoryDataOperationEnumE1ELi2ELNS_10TailNumberE10EEEvNT_8ArgumentE,@function
_ZN2ck27kernel_gemm_xdl_cshuffle_v3INS_28GridwiseGemm_xdl_cshuffle_v3INS_13tensor_layout4gemm8RowMajorENS3_11ColumnMajorES4_DF16_NS_7pk_i4_tEfDF16_DF16_NS_16tensor_operation12element_wise11PassThroughES9_S9_LNS7_6device18GemmSpecializationE0ELi128ELi16ELi128ELi128ELi8ELi32ELi16ELi16ELi1ELi2ENS_8SequenceIJLi16ELi8ELi1EEEENSC_IJLi1ELi0ELi2EEEESE_Li2ELi8ELi8ELb0ELi0ENSC_IJLi4ELi32ELi1EEEESE_SE_Li2ELi32ELi32ELb0ELi0ELi1ELi1ENSC_IJLi1ELi16ELi1ELi8EEEELi4ELNS_26BlockGemmPipelineSchedulerE1ELNS_24BlockGemmPipelineVersionE1EDF16_DF16_Lb0ELb1ELb0ELi0ELb0EEELb1ELNS_25InMemoryDataOperationEnumE1ELi2ELNS_10TailNumberE10EEEvNT_8ArgumentE: ; @_ZN2ck27kernel_gemm_xdl_cshuffle_v3INS_28GridwiseGemm_xdl_cshuffle_v3INS_13tensor_layout4gemm8RowMajorENS3_11ColumnMajorES4_DF16_NS_7pk_i4_tEfDF16_DF16_NS_16tensor_operation12element_wise11PassThroughES9_S9_LNS7_6device18GemmSpecializationE0ELi128ELi16ELi128ELi128ELi8ELi32ELi16ELi16ELi1ELi2ENS_8SequenceIJLi16ELi8ELi1EEEENSC_IJLi1ELi0ELi2EEEESE_Li2ELi8ELi8ELb0ELi0ENSC_IJLi4ELi32ELi1EEEESE_SE_Li2ELi32ELi32ELb0ELi0ELi1ELi1ENSC_IJLi1ELi16ELi1ELi8EEEELi4ELNS_26BlockGemmPipelineSchedulerE1ELNS_24BlockGemmPipelineVersionE1EDF16_DF16_Lb0ELb1ELb0ELi0ELb0EEELb1ELNS_25InMemoryDataOperationEnumE1ELi2ELNS_10TailNumberE10EEEvNT_8ArgumentE
; %bb.0:
	s_endpgm
	.section	.rodata,"a",@progbits
	.p2align	6, 0x0
	.amdhsa_kernel _ZN2ck27kernel_gemm_xdl_cshuffle_v3INS_28GridwiseGemm_xdl_cshuffle_v3INS_13tensor_layout4gemm8RowMajorENS3_11ColumnMajorES4_DF16_NS_7pk_i4_tEfDF16_DF16_NS_16tensor_operation12element_wise11PassThroughES9_S9_LNS7_6device18GemmSpecializationE0ELi128ELi16ELi128ELi128ELi8ELi32ELi16ELi16ELi1ELi2ENS_8SequenceIJLi16ELi8ELi1EEEENSC_IJLi1ELi0ELi2EEEESE_Li2ELi8ELi8ELb0ELi0ENSC_IJLi4ELi32ELi1EEEESE_SE_Li2ELi32ELi32ELb0ELi0ELi1ELi1ENSC_IJLi1ELi16ELi1ELi8EEEELi4ELNS_26BlockGemmPipelineSchedulerE1ELNS_24BlockGemmPipelineVersionE1EDF16_DF16_Lb0ELb1ELb0ELi0ELb0EEELb1ELNS_25InMemoryDataOperationEnumE1ELi2ELNS_10TailNumberE10EEEvNT_8ArgumentE
		.amdhsa_group_segment_fixed_size 0
		.amdhsa_private_segment_fixed_size 0
		.amdhsa_kernarg_size 112
		.amdhsa_user_sgpr_count 2
		.amdhsa_user_sgpr_dispatch_ptr 0
		.amdhsa_user_sgpr_queue_ptr 0
		.amdhsa_user_sgpr_kernarg_segment_ptr 1
		.amdhsa_user_sgpr_dispatch_id 0
		.amdhsa_user_sgpr_kernarg_preload_length 0
		.amdhsa_user_sgpr_kernarg_preload_offset 0
		.amdhsa_user_sgpr_private_segment_size 0
		.amdhsa_uses_dynamic_stack 0
		.amdhsa_enable_private_segment 0
		.amdhsa_system_sgpr_workgroup_id_x 1
		.amdhsa_system_sgpr_workgroup_id_y 0
		.amdhsa_system_sgpr_workgroup_id_z 0
		.amdhsa_system_sgpr_workgroup_info 0
		.amdhsa_system_vgpr_workitem_id 0
		.amdhsa_next_free_vgpr 1
		.amdhsa_next_free_sgpr 0
		.amdhsa_accum_offset 4
		.amdhsa_reserve_vcc 0
		.amdhsa_float_round_mode_32 0
		.amdhsa_float_round_mode_16_64 0
		.amdhsa_float_denorm_mode_32 3
		.amdhsa_float_denorm_mode_16_64 3
		.amdhsa_dx10_clamp 1
		.amdhsa_ieee_mode 1
		.amdhsa_fp16_overflow 0
		.amdhsa_tg_split 0
		.amdhsa_exception_fp_ieee_invalid_op 0
		.amdhsa_exception_fp_denorm_src 0
		.amdhsa_exception_fp_ieee_div_zero 0
		.amdhsa_exception_fp_ieee_overflow 0
		.amdhsa_exception_fp_ieee_underflow 0
		.amdhsa_exception_fp_ieee_inexact 0
		.amdhsa_exception_int_div_zero 0
	.end_amdhsa_kernel
	.section	.text._ZN2ck27kernel_gemm_xdl_cshuffle_v3INS_28GridwiseGemm_xdl_cshuffle_v3INS_13tensor_layout4gemm8RowMajorENS3_11ColumnMajorES4_DF16_NS_7pk_i4_tEfDF16_DF16_NS_16tensor_operation12element_wise11PassThroughES9_S9_LNS7_6device18GemmSpecializationE0ELi128ELi16ELi128ELi128ELi8ELi32ELi16ELi16ELi1ELi2ENS_8SequenceIJLi16ELi8ELi1EEEENSC_IJLi1ELi0ELi2EEEESE_Li2ELi8ELi8ELb0ELi0ENSC_IJLi4ELi32ELi1EEEESE_SE_Li2ELi32ELi32ELb0ELi0ELi1ELi1ENSC_IJLi1ELi16ELi1ELi8EEEELi4ELNS_26BlockGemmPipelineSchedulerE1ELNS_24BlockGemmPipelineVersionE1EDF16_DF16_Lb0ELb1ELb0ELi0ELb0EEELb1ELNS_25InMemoryDataOperationEnumE1ELi2ELNS_10TailNumberE10EEEvNT_8ArgumentE,"axG",@progbits,_ZN2ck27kernel_gemm_xdl_cshuffle_v3INS_28GridwiseGemm_xdl_cshuffle_v3INS_13tensor_layout4gemm8RowMajorENS3_11ColumnMajorES4_DF16_NS_7pk_i4_tEfDF16_DF16_NS_16tensor_operation12element_wise11PassThroughES9_S9_LNS7_6device18GemmSpecializationE0ELi128ELi16ELi128ELi128ELi8ELi32ELi16ELi16ELi1ELi2ENS_8SequenceIJLi16ELi8ELi1EEEENSC_IJLi1ELi0ELi2EEEESE_Li2ELi8ELi8ELb0ELi0ENSC_IJLi4ELi32ELi1EEEESE_SE_Li2ELi32ELi32ELb0ELi0ELi1ELi1ENSC_IJLi1ELi16ELi1ELi8EEEELi4ELNS_26BlockGemmPipelineSchedulerE1ELNS_24BlockGemmPipelineVersionE1EDF16_DF16_Lb0ELb1ELb0ELi0ELb0EEELb1ELNS_25InMemoryDataOperationEnumE1ELi2ELNS_10TailNumberE10EEEvNT_8ArgumentE,comdat
.Lfunc_end6:
	.size	_ZN2ck27kernel_gemm_xdl_cshuffle_v3INS_28GridwiseGemm_xdl_cshuffle_v3INS_13tensor_layout4gemm8RowMajorENS3_11ColumnMajorES4_DF16_NS_7pk_i4_tEfDF16_DF16_NS_16tensor_operation12element_wise11PassThroughES9_S9_LNS7_6device18GemmSpecializationE0ELi128ELi16ELi128ELi128ELi8ELi32ELi16ELi16ELi1ELi2ENS_8SequenceIJLi16ELi8ELi1EEEENSC_IJLi1ELi0ELi2EEEESE_Li2ELi8ELi8ELb0ELi0ENSC_IJLi4ELi32ELi1EEEESE_SE_Li2ELi32ELi32ELb0ELi0ELi1ELi1ENSC_IJLi1ELi16ELi1ELi8EEEELi4ELNS_26BlockGemmPipelineSchedulerE1ELNS_24BlockGemmPipelineVersionE1EDF16_DF16_Lb0ELb1ELb0ELi0ELb0EEELb1ELNS_25InMemoryDataOperationEnumE1ELi2ELNS_10TailNumberE10EEEvNT_8ArgumentE, .Lfunc_end6-_ZN2ck27kernel_gemm_xdl_cshuffle_v3INS_28GridwiseGemm_xdl_cshuffle_v3INS_13tensor_layout4gemm8RowMajorENS3_11ColumnMajorES4_DF16_NS_7pk_i4_tEfDF16_DF16_NS_16tensor_operation12element_wise11PassThroughES9_S9_LNS7_6device18GemmSpecializationE0ELi128ELi16ELi128ELi128ELi8ELi32ELi16ELi16ELi1ELi2ENS_8SequenceIJLi16ELi8ELi1EEEENSC_IJLi1ELi0ELi2EEEESE_Li2ELi8ELi8ELb0ELi0ENSC_IJLi4ELi32ELi1EEEESE_SE_Li2ELi32ELi32ELb0ELi0ELi1ELi1ENSC_IJLi1ELi16ELi1ELi8EEEELi4ELNS_26BlockGemmPipelineSchedulerE1ELNS_24BlockGemmPipelineVersionE1EDF16_DF16_Lb0ELb1ELb0ELi0ELb0EEELb1ELNS_25InMemoryDataOperationEnumE1ELi2ELNS_10TailNumberE10EEEvNT_8ArgumentE
                                        ; -- End function
	.set _ZN2ck27kernel_gemm_xdl_cshuffle_v3INS_28GridwiseGemm_xdl_cshuffle_v3INS_13tensor_layout4gemm8RowMajorENS3_11ColumnMajorES4_DF16_NS_7pk_i4_tEfDF16_DF16_NS_16tensor_operation12element_wise11PassThroughES9_S9_LNS7_6device18GemmSpecializationE0ELi128ELi16ELi128ELi128ELi8ELi32ELi16ELi16ELi1ELi2ENS_8SequenceIJLi16ELi8ELi1EEEENSC_IJLi1ELi0ELi2EEEESE_Li2ELi8ELi8ELb0ELi0ENSC_IJLi4ELi32ELi1EEEESE_SE_Li2ELi32ELi32ELb0ELi0ELi1ELi1ENSC_IJLi1ELi16ELi1ELi8EEEELi4ELNS_26BlockGemmPipelineSchedulerE1ELNS_24BlockGemmPipelineVersionE1EDF16_DF16_Lb0ELb1ELb0ELi0ELb0EEELb1ELNS_25InMemoryDataOperationEnumE1ELi2ELNS_10TailNumberE10EEEvNT_8ArgumentE.num_vgpr, 0
	.set _ZN2ck27kernel_gemm_xdl_cshuffle_v3INS_28GridwiseGemm_xdl_cshuffle_v3INS_13tensor_layout4gemm8RowMajorENS3_11ColumnMajorES4_DF16_NS_7pk_i4_tEfDF16_DF16_NS_16tensor_operation12element_wise11PassThroughES9_S9_LNS7_6device18GemmSpecializationE0ELi128ELi16ELi128ELi128ELi8ELi32ELi16ELi16ELi1ELi2ENS_8SequenceIJLi16ELi8ELi1EEEENSC_IJLi1ELi0ELi2EEEESE_Li2ELi8ELi8ELb0ELi0ENSC_IJLi4ELi32ELi1EEEESE_SE_Li2ELi32ELi32ELb0ELi0ELi1ELi1ENSC_IJLi1ELi16ELi1ELi8EEEELi4ELNS_26BlockGemmPipelineSchedulerE1ELNS_24BlockGemmPipelineVersionE1EDF16_DF16_Lb0ELb1ELb0ELi0ELb0EEELb1ELNS_25InMemoryDataOperationEnumE1ELi2ELNS_10TailNumberE10EEEvNT_8ArgumentE.num_agpr, 0
	.set _ZN2ck27kernel_gemm_xdl_cshuffle_v3INS_28GridwiseGemm_xdl_cshuffle_v3INS_13tensor_layout4gemm8RowMajorENS3_11ColumnMajorES4_DF16_NS_7pk_i4_tEfDF16_DF16_NS_16tensor_operation12element_wise11PassThroughES9_S9_LNS7_6device18GemmSpecializationE0ELi128ELi16ELi128ELi128ELi8ELi32ELi16ELi16ELi1ELi2ENS_8SequenceIJLi16ELi8ELi1EEEENSC_IJLi1ELi0ELi2EEEESE_Li2ELi8ELi8ELb0ELi0ENSC_IJLi4ELi32ELi1EEEESE_SE_Li2ELi32ELi32ELb0ELi0ELi1ELi1ENSC_IJLi1ELi16ELi1ELi8EEEELi4ELNS_26BlockGemmPipelineSchedulerE1ELNS_24BlockGemmPipelineVersionE1EDF16_DF16_Lb0ELb1ELb0ELi0ELb0EEELb1ELNS_25InMemoryDataOperationEnumE1ELi2ELNS_10TailNumberE10EEEvNT_8ArgumentE.numbered_sgpr, 0
	.set _ZN2ck27kernel_gemm_xdl_cshuffle_v3INS_28GridwiseGemm_xdl_cshuffle_v3INS_13tensor_layout4gemm8RowMajorENS3_11ColumnMajorES4_DF16_NS_7pk_i4_tEfDF16_DF16_NS_16tensor_operation12element_wise11PassThroughES9_S9_LNS7_6device18GemmSpecializationE0ELi128ELi16ELi128ELi128ELi8ELi32ELi16ELi16ELi1ELi2ENS_8SequenceIJLi16ELi8ELi1EEEENSC_IJLi1ELi0ELi2EEEESE_Li2ELi8ELi8ELb0ELi0ENSC_IJLi4ELi32ELi1EEEESE_SE_Li2ELi32ELi32ELb0ELi0ELi1ELi1ENSC_IJLi1ELi16ELi1ELi8EEEELi4ELNS_26BlockGemmPipelineSchedulerE1ELNS_24BlockGemmPipelineVersionE1EDF16_DF16_Lb0ELb1ELb0ELi0ELb0EEELb1ELNS_25InMemoryDataOperationEnumE1ELi2ELNS_10TailNumberE10EEEvNT_8ArgumentE.num_named_barrier, 0
	.set _ZN2ck27kernel_gemm_xdl_cshuffle_v3INS_28GridwiseGemm_xdl_cshuffle_v3INS_13tensor_layout4gemm8RowMajorENS3_11ColumnMajorES4_DF16_NS_7pk_i4_tEfDF16_DF16_NS_16tensor_operation12element_wise11PassThroughES9_S9_LNS7_6device18GemmSpecializationE0ELi128ELi16ELi128ELi128ELi8ELi32ELi16ELi16ELi1ELi2ENS_8SequenceIJLi16ELi8ELi1EEEENSC_IJLi1ELi0ELi2EEEESE_Li2ELi8ELi8ELb0ELi0ENSC_IJLi4ELi32ELi1EEEESE_SE_Li2ELi32ELi32ELb0ELi0ELi1ELi1ENSC_IJLi1ELi16ELi1ELi8EEEELi4ELNS_26BlockGemmPipelineSchedulerE1ELNS_24BlockGemmPipelineVersionE1EDF16_DF16_Lb0ELb1ELb0ELi0ELb0EEELb1ELNS_25InMemoryDataOperationEnumE1ELi2ELNS_10TailNumberE10EEEvNT_8ArgumentE.private_seg_size, 0
	.set _ZN2ck27kernel_gemm_xdl_cshuffle_v3INS_28GridwiseGemm_xdl_cshuffle_v3INS_13tensor_layout4gemm8RowMajorENS3_11ColumnMajorES4_DF16_NS_7pk_i4_tEfDF16_DF16_NS_16tensor_operation12element_wise11PassThroughES9_S9_LNS7_6device18GemmSpecializationE0ELi128ELi16ELi128ELi128ELi8ELi32ELi16ELi16ELi1ELi2ENS_8SequenceIJLi16ELi8ELi1EEEENSC_IJLi1ELi0ELi2EEEESE_Li2ELi8ELi8ELb0ELi0ENSC_IJLi4ELi32ELi1EEEESE_SE_Li2ELi32ELi32ELb0ELi0ELi1ELi1ENSC_IJLi1ELi16ELi1ELi8EEEELi4ELNS_26BlockGemmPipelineSchedulerE1ELNS_24BlockGemmPipelineVersionE1EDF16_DF16_Lb0ELb1ELb0ELi0ELb0EEELb1ELNS_25InMemoryDataOperationEnumE1ELi2ELNS_10TailNumberE10EEEvNT_8ArgumentE.uses_vcc, 0
	.set _ZN2ck27kernel_gemm_xdl_cshuffle_v3INS_28GridwiseGemm_xdl_cshuffle_v3INS_13tensor_layout4gemm8RowMajorENS3_11ColumnMajorES4_DF16_NS_7pk_i4_tEfDF16_DF16_NS_16tensor_operation12element_wise11PassThroughES9_S9_LNS7_6device18GemmSpecializationE0ELi128ELi16ELi128ELi128ELi8ELi32ELi16ELi16ELi1ELi2ENS_8SequenceIJLi16ELi8ELi1EEEENSC_IJLi1ELi0ELi2EEEESE_Li2ELi8ELi8ELb0ELi0ENSC_IJLi4ELi32ELi1EEEESE_SE_Li2ELi32ELi32ELb0ELi0ELi1ELi1ENSC_IJLi1ELi16ELi1ELi8EEEELi4ELNS_26BlockGemmPipelineSchedulerE1ELNS_24BlockGemmPipelineVersionE1EDF16_DF16_Lb0ELb1ELb0ELi0ELb0EEELb1ELNS_25InMemoryDataOperationEnumE1ELi2ELNS_10TailNumberE10EEEvNT_8ArgumentE.uses_flat_scratch, 0
	.set _ZN2ck27kernel_gemm_xdl_cshuffle_v3INS_28GridwiseGemm_xdl_cshuffle_v3INS_13tensor_layout4gemm8RowMajorENS3_11ColumnMajorES4_DF16_NS_7pk_i4_tEfDF16_DF16_NS_16tensor_operation12element_wise11PassThroughES9_S9_LNS7_6device18GemmSpecializationE0ELi128ELi16ELi128ELi128ELi8ELi32ELi16ELi16ELi1ELi2ENS_8SequenceIJLi16ELi8ELi1EEEENSC_IJLi1ELi0ELi2EEEESE_Li2ELi8ELi8ELb0ELi0ENSC_IJLi4ELi32ELi1EEEESE_SE_Li2ELi32ELi32ELb0ELi0ELi1ELi1ENSC_IJLi1ELi16ELi1ELi8EEEELi4ELNS_26BlockGemmPipelineSchedulerE1ELNS_24BlockGemmPipelineVersionE1EDF16_DF16_Lb0ELb1ELb0ELi0ELb0EEELb1ELNS_25InMemoryDataOperationEnumE1ELi2ELNS_10TailNumberE10EEEvNT_8ArgumentE.has_dyn_sized_stack, 0
	.set _ZN2ck27kernel_gemm_xdl_cshuffle_v3INS_28GridwiseGemm_xdl_cshuffle_v3INS_13tensor_layout4gemm8RowMajorENS3_11ColumnMajorES4_DF16_NS_7pk_i4_tEfDF16_DF16_NS_16tensor_operation12element_wise11PassThroughES9_S9_LNS7_6device18GemmSpecializationE0ELi128ELi16ELi128ELi128ELi8ELi32ELi16ELi16ELi1ELi2ENS_8SequenceIJLi16ELi8ELi1EEEENSC_IJLi1ELi0ELi2EEEESE_Li2ELi8ELi8ELb0ELi0ENSC_IJLi4ELi32ELi1EEEESE_SE_Li2ELi32ELi32ELb0ELi0ELi1ELi1ENSC_IJLi1ELi16ELi1ELi8EEEELi4ELNS_26BlockGemmPipelineSchedulerE1ELNS_24BlockGemmPipelineVersionE1EDF16_DF16_Lb0ELb1ELb0ELi0ELb0EEELb1ELNS_25InMemoryDataOperationEnumE1ELi2ELNS_10TailNumberE10EEEvNT_8ArgumentE.has_recursion, 0
	.set _ZN2ck27kernel_gemm_xdl_cshuffle_v3INS_28GridwiseGemm_xdl_cshuffle_v3INS_13tensor_layout4gemm8RowMajorENS3_11ColumnMajorES4_DF16_NS_7pk_i4_tEfDF16_DF16_NS_16tensor_operation12element_wise11PassThroughES9_S9_LNS7_6device18GemmSpecializationE0ELi128ELi16ELi128ELi128ELi8ELi32ELi16ELi16ELi1ELi2ENS_8SequenceIJLi16ELi8ELi1EEEENSC_IJLi1ELi0ELi2EEEESE_Li2ELi8ELi8ELb0ELi0ENSC_IJLi4ELi32ELi1EEEESE_SE_Li2ELi32ELi32ELb0ELi0ELi1ELi1ENSC_IJLi1ELi16ELi1ELi8EEEELi4ELNS_26BlockGemmPipelineSchedulerE1ELNS_24BlockGemmPipelineVersionE1EDF16_DF16_Lb0ELb1ELb0ELi0ELb0EEELb1ELNS_25InMemoryDataOperationEnumE1ELi2ELNS_10TailNumberE10EEEvNT_8ArgumentE.has_indirect_call, 0
	.section	.AMDGPU.csdata,"",@progbits
; Kernel info:
; codeLenInByte = 4
; TotalNumSgprs: 6
; NumVgprs: 0
; NumAgprs: 0
; TotalNumVgprs: 0
; ScratchSize: 0
; MemoryBound: 0
; FloatMode: 240
; IeeeMode: 1
; LDSByteSize: 0 bytes/workgroup (compile time only)
; SGPRBlocks: 0
; VGPRBlocks: 0
; NumSGPRsForWavesPerEU: 6
; NumVGPRsForWavesPerEU: 1
; AccumOffset: 4
; Occupancy: 8
; WaveLimiterHint : 0
; COMPUTE_PGM_RSRC2:SCRATCH_EN: 0
; COMPUTE_PGM_RSRC2:USER_SGPR: 2
; COMPUTE_PGM_RSRC2:TRAP_HANDLER: 0
; COMPUTE_PGM_RSRC2:TGID_X_EN: 1
; COMPUTE_PGM_RSRC2:TGID_Y_EN: 0
; COMPUTE_PGM_RSRC2:TGID_Z_EN: 0
; COMPUTE_PGM_RSRC2:TIDIG_COMP_CNT: 0
; COMPUTE_PGM_RSRC3_GFX90A:ACCUM_OFFSET: 0
; COMPUTE_PGM_RSRC3_GFX90A:TG_SPLIT: 0
	.section	.text._ZN2ck27kernel_gemm_xdl_cshuffle_v3INS_28GridwiseGemm_xdl_cshuffle_v3INS_13tensor_layout4gemm8RowMajorENS3_11ColumnMajorES4_DF16_NS_7pk_i4_tEfDF16_DF16_NS_16tensor_operation12element_wise11PassThroughES9_S9_LNS7_6device18GemmSpecializationE0ELi128ELi16ELi128ELi128ELi8ELi32ELi16ELi16ELi1ELi2ENS_8SequenceIJLi16ELi8ELi1EEEENSC_IJLi1ELi0ELi2EEEESE_Li2ELi8ELi8ELb0ELi0ENSC_IJLi4ELi32ELi1EEEESE_SE_Li2ELi32ELi32ELb0ELi0ELi1ELi1ENSC_IJLi1ELi16ELi1ELi8EEEELi4ELNS_26BlockGemmPipelineSchedulerE1ELNS_24BlockGemmPipelineVersionE1EDF16_DF16_Lb0ELb1ELb0ELi0ELb0EEELb1ELNS_25InMemoryDataOperationEnumE0ELi2ELNS_10TailNumberE2EEEvNT_8ArgumentE,"axG",@progbits,_ZN2ck27kernel_gemm_xdl_cshuffle_v3INS_28GridwiseGemm_xdl_cshuffle_v3INS_13tensor_layout4gemm8RowMajorENS3_11ColumnMajorES4_DF16_NS_7pk_i4_tEfDF16_DF16_NS_16tensor_operation12element_wise11PassThroughES9_S9_LNS7_6device18GemmSpecializationE0ELi128ELi16ELi128ELi128ELi8ELi32ELi16ELi16ELi1ELi2ENS_8SequenceIJLi16ELi8ELi1EEEENSC_IJLi1ELi0ELi2EEEESE_Li2ELi8ELi8ELb0ELi0ENSC_IJLi4ELi32ELi1EEEESE_SE_Li2ELi32ELi32ELb0ELi0ELi1ELi1ENSC_IJLi1ELi16ELi1ELi8EEEELi4ELNS_26BlockGemmPipelineSchedulerE1ELNS_24BlockGemmPipelineVersionE1EDF16_DF16_Lb0ELb1ELb0ELi0ELb0EEELb1ELNS_25InMemoryDataOperationEnumE0ELi2ELNS_10TailNumberE2EEEvNT_8ArgumentE,comdat
	.protected	_ZN2ck27kernel_gemm_xdl_cshuffle_v3INS_28GridwiseGemm_xdl_cshuffle_v3INS_13tensor_layout4gemm8RowMajorENS3_11ColumnMajorES4_DF16_NS_7pk_i4_tEfDF16_DF16_NS_16tensor_operation12element_wise11PassThroughES9_S9_LNS7_6device18GemmSpecializationE0ELi128ELi16ELi128ELi128ELi8ELi32ELi16ELi16ELi1ELi2ENS_8SequenceIJLi16ELi8ELi1EEEENSC_IJLi1ELi0ELi2EEEESE_Li2ELi8ELi8ELb0ELi0ENSC_IJLi4ELi32ELi1EEEESE_SE_Li2ELi32ELi32ELb0ELi0ELi1ELi1ENSC_IJLi1ELi16ELi1ELi8EEEELi4ELNS_26BlockGemmPipelineSchedulerE1ELNS_24BlockGemmPipelineVersionE1EDF16_DF16_Lb0ELb1ELb0ELi0ELb0EEELb1ELNS_25InMemoryDataOperationEnumE0ELi2ELNS_10TailNumberE2EEEvNT_8ArgumentE ; -- Begin function _ZN2ck27kernel_gemm_xdl_cshuffle_v3INS_28GridwiseGemm_xdl_cshuffle_v3INS_13tensor_layout4gemm8RowMajorENS3_11ColumnMajorES4_DF16_NS_7pk_i4_tEfDF16_DF16_NS_16tensor_operation12element_wise11PassThroughES9_S9_LNS7_6device18GemmSpecializationE0ELi128ELi16ELi128ELi128ELi8ELi32ELi16ELi16ELi1ELi2ENS_8SequenceIJLi16ELi8ELi1EEEENSC_IJLi1ELi0ELi2EEEESE_Li2ELi8ELi8ELb0ELi0ENSC_IJLi4ELi32ELi1EEEESE_SE_Li2ELi32ELi32ELb0ELi0ELi1ELi1ENSC_IJLi1ELi16ELi1ELi8EEEELi4ELNS_26BlockGemmPipelineSchedulerE1ELNS_24BlockGemmPipelineVersionE1EDF16_DF16_Lb0ELb1ELb0ELi0ELb0EEELb1ELNS_25InMemoryDataOperationEnumE0ELi2ELNS_10TailNumberE2EEEvNT_8ArgumentE
	.globl	_ZN2ck27kernel_gemm_xdl_cshuffle_v3INS_28GridwiseGemm_xdl_cshuffle_v3INS_13tensor_layout4gemm8RowMajorENS3_11ColumnMajorES4_DF16_NS_7pk_i4_tEfDF16_DF16_NS_16tensor_operation12element_wise11PassThroughES9_S9_LNS7_6device18GemmSpecializationE0ELi128ELi16ELi128ELi128ELi8ELi32ELi16ELi16ELi1ELi2ENS_8SequenceIJLi16ELi8ELi1EEEENSC_IJLi1ELi0ELi2EEEESE_Li2ELi8ELi8ELb0ELi0ENSC_IJLi4ELi32ELi1EEEESE_SE_Li2ELi32ELi32ELb0ELi0ELi1ELi1ENSC_IJLi1ELi16ELi1ELi8EEEELi4ELNS_26BlockGemmPipelineSchedulerE1ELNS_24BlockGemmPipelineVersionE1EDF16_DF16_Lb0ELb1ELb0ELi0ELb0EEELb1ELNS_25InMemoryDataOperationEnumE0ELi2ELNS_10TailNumberE2EEEvNT_8ArgumentE
	.p2align	8
	.type	_ZN2ck27kernel_gemm_xdl_cshuffle_v3INS_28GridwiseGemm_xdl_cshuffle_v3INS_13tensor_layout4gemm8RowMajorENS3_11ColumnMajorES4_DF16_NS_7pk_i4_tEfDF16_DF16_NS_16tensor_operation12element_wise11PassThroughES9_S9_LNS7_6device18GemmSpecializationE0ELi128ELi16ELi128ELi128ELi8ELi32ELi16ELi16ELi1ELi2ENS_8SequenceIJLi16ELi8ELi1EEEENSC_IJLi1ELi0ELi2EEEESE_Li2ELi8ELi8ELb0ELi0ENSC_IJLi4ELi32ELi1EEEESE_SE_Li2ELi32ELi32ELb0ELi0ELi1ELi1ENSC_IJLi1ELi16ELi1ELi8EEEELi4ELNS_26BlockGemmPipelineSchedulerE1ELNS_24BlockGemmPipelineVersionE1EDF16_DF16_Lb0ELb1ELb0ELi0ELb0EEELb1ELNS_25InMemoryDataOperationEnumE0ELi2ELNS_10TailNumberE2EEEvNT_8ArgumentE,@function
_ZN2ck27kernel_gemm_xdl_cshuffle_v3INS_28GridwiseGemm_xdl_cshuffle_v3INS_13tensor_layout4gemm8RowMajorENS3_11ColumnMajorES4_DF16_NS_7pk_i4_tEfDF16_DF16_NS_16tensor_operation12element_wise11PassThroughES9_S9_LNS7_6device18GemmSpecializationE0ELi128ELi16ELi128ELi128ELi8ELi32ELi16ELi16ELi1ELi2ENS_8SequenceIJLi16ELi8ELi1EEEENSC_IJLi1ELi0ELi2EEEESE_Li2ELi8ELi8ELb0ELi0ENSC_IJLi4ELi32ELi1EEEESE_SE_Li2ELi32ELi32ELb0ELi0ELi1ELi1ENSC_IJLi1ELi16ELi1ELi8EEEELi4ELNS_26BlockGemmPipelineSchedulerE1ELNS_24BlockGemmPipelineVersionE1EDF16_DF16_Lb0ELb1ELb0ELi0ELb0EEELb1ELNS_25InMemoryDataOperationEnumE0ELi2ELNS_10TailNumberE2EEEvNT_8ArgumentE: ; @_ZN2ck27kernel_gemm_xdl_cshuffle_v3INS_28GridwiseGemm_xdl_cshuffle_v3INS_13tensor_layout4gemm8RowMajorENS3_11ColumnMajorES4_DF16_NS_7pk_i4_tEfDF16_DF16_NS_16tensor_operation12element_wise11PassThroughES9_S9_LNS7_6device18GemmSpecializationE0ELi128ELi16ELi128ELi128ELi8ELi32ELi16ELi16ELi1ELi2ENS_8SequenceIJLi16ELi8ELi1EEEENSC_IJLi1ELi0ELi2EEEESE_Li2ELi8ELi8ELb0ELi0ENSC_IJLi4ELi32ELi1EEEESE_SE_Li2ELi32ELi32ELb0ELi0ELi1ELi1ENSC_IJLi1ELi16ELi1ELi8EEEELi4ELNS_26BlockGemmPipelineSchedulerE1ELNS_24BlockGemmPipelineVersionE1EDF16_DF16_Lb0ELb1ELb0ELi0ELb0EEELb1ELNS_25InMemoryDataOperationEnumE0ELi2ELNS_10TailNumberE2EEEvNT_8ArgumentE
; %bb.0:
	s_endpgm
	.section	.rodata,"a",@progbits
	.p2align	6, 0x0
	.amdhsa_kernel _ZN2ck27kernel_gemm_xdl_cshuffle_v3INS_28GridwiseGemm_xdl_cshuffle_v3INS_13tensor_layout4gemm8RowMajorENS3_11ColumnMajorES4_DF16_NS_7pk_i4_tEfDF16_DF16_NS_16tensor_operation12element_wise11PassThroughES9_S9_LNS7_6device18GemmSpecializationE0ELi128ELi16ELi128ELi128ELi8ELi32ELi16ELi16ELi1ELi2ENS_8SequenceIJLi16ELi8ELi1EEEENSC_IJLi1ELi0ELi2EEEESE_Li2ELi8ELi8ELb0ELi0ENSC_IJLi4ELi32ELi1EEEESE_SE_Li2ELi32ELi32ELb0ELi0ELi1ELi1ENSC_IJLi1ELi16ELi1ELi8EEEELi4ELNS_26BlockGemmPipelineSchedulerE1ELNS_24BlockGemmPipelineVersionE1EDF16_DF16_Lb0ELb1ELb0ELi0ELb0EEELb1ELNS_25InMemoryDataOperationEnumE0ELi2ELNS_10TailNumberE2EEEvNT_8ArgumentE
		.amdhsa_group_segment_fixed_size 0
		.amdhsa_private_segment_fixed_size 0
		.amdhsa_kernarg_size 112
		.amdhsa_user_sgpr_count 2
		.amdhsa_user_sgpr_dispatch_ptr 0
		.amdhsa_user_sgpr_queue_ptr 0
		.amdhsa_user_sgpr_kernarg_segment_ptr 1
		.amdhsa_user_sgpr_dispatch_id 0
		.amdhsa_user_sgpr_kernarg_preload_length 0
		.amdhsa_user_sgpr_kernarg_preload_offset 0
		.amdhsa_user_sgpr_private_segment_size 0
		.amdhsa_uses_dynamic_stack 0
		.amdhsa_enable_private_segment 0
		.amdhsa_system_sgpr_workgroup_id_x 1
		.amdhsa_system_sgpr_workgroup_id_y 0
		.amdhsa_system_sgpr_workgroup_id_z 0
		.amdhsa_system_sgpr_workgroup_info 0
		.amdhsa_system_vgpr_workitem_id 0
		.amdhsa_next_free_vgpr 1
		.amdhsa_next_free_sgpr 0
		.amdhsa_accum_offset 4
		.amdhsa_reserve_vcc 0
		.amdhsa_float_round_mode_32 0
		.amdhsa_float_round_mode_16_64 0
		.amdhsa_float_denorm_mode_32 3
		.amdhsa_float_denorm_mode_16_64 3
		.amdhsa_dx10_clamp 1
		.amdhsa_ieee_mode 1
		.amdhsa_fp16_overflow 0
		.amdhsa_tg_split 0
		.amdhsa_exception_fp_ieee_invalid_op 0
		.amdhsa_exception_fp_denorm_src 0
		.amdhsa_exception_fp_ieee_div_zero 0
		.amdhsa_exception_fp_ieee_overflow 0
		.amdhsa_exception_fp_ieee_underflow 0
		.amdhsa_exception_fp_ieee_inexact 0
		.amdhsa_exception_int_div_zero 0
	.end_amdhsa_kernel
	.section	.text._ZN2ck27kernel_gemm_xdl_cshuffle_v3INS_28GridwiseGemm_xdl_cshuffle_v3INS_13tensor_layout4gemm8RowMajorENS3_11ColumnMajorES4_DF16_NS_7pk_i4_tEfDF16_DF16_NS_16tensor_operation12element_wise11PassThroughES9_S9_LNS7_6device18GemmSpecializationE0ELi128ELi16ELi128ELi128ELi8ELi32ELi16ELi16ELi1ELi2ENS_8SequenceIJLi16ELi8ELi1EEEENSC_IJLi1ELi0ELi2EEEESE_Li2ELi8ELi8ELb0ELi0ENSC_IJLi4ELi32ELi1EEEESE_SE_Li2ELi32ELi32ELb0ELi0ELi1ELi1ENSC_IJLi1ELi16ELi1ELi8EEEELi4ELNS_26BlockGemmPipelineSchedulerE1ELNS_24BlockGemmPipelineVersionE1EDF16_DF16_Lb0ELb1ELb0ELi0ELb0EEELb1ELNS_25InMemoryDataOperationEnumE0ELi2ELNS_10TailNumberE2EEEvNT_8ArgumentE,"axG",@progbits,_ZN2ck27kernel_gemm_xdl_cshuffle_v3INS_28GridwiseGemm_xdl_cshuffle_v3INS_13tensor_layout4gemm8RowMajorENS3_11ColumnMajorES4_DF16_NS_7pk_i4_tEfDF16_DF16_NS_16tensor_operation12element_wise11PassThroughES9_S9_LNS7_6device18GemmSpecializationE0ELi128ELi16ELi128ELi128ELi8ELi32ELi16ELi16ELi1ELi2ENS_8SequenceIJLi16ELi8ELi1EEEENSC_IJLi1ELi0ELi2EEEESE_Li2ELi8ELi8ELb0ELi0ENSC_IJLi4ELi32ELi1EEEESE_SE_Li2ELi32ELi32ELb0ELi0ELi1ELi1ENSC_IJLi1ELi16ELi1ELi8EEEELi4ELNS_26BlockGemmPipelineSchedulerE1ELNS_24BlockGemmPipelineVersionE1EDF16_DF16_Lb0ELb1ELb0ELi0ELb0EEELb1ELNS_25InMemoryDataOperationEnumE0ELi2ELNS_10TailNumberE2EEEvNT_8ArgumentE,comdat
.Lfunc_end7:
	.size	_ZN2ck27kernel_gemm_xdl_cshuffle_v3INS_28GridwiseGemm_xdl_cshuffle_v3INS_13tensor_layout4gemm8RowMajorENS3_11ColumnMajorES4_DF16_NS_7pk_i4_tEfDF16_DF16_NS_16tensor_operation12element_wise11PassThroughES9_S9_LNS7_6device18GemmSpecializationE0ELi128ELi16ELi128ELi128ELi8ELi32ELi16ELi16ELi1ELi2ENS_8SequenceIJLi16ELi8ELi1EEEENSC_IJLi1ELi0ELi2EEEESE_Li2ELi8ELi8ELb0ELi0ENSC_IJLi4ELi32ELi1EEEESE_SE_Li2ELi32ELi32ELb0ELi0ELi1ELi1ENSC_IJLi1ELi16ELi1ELi8EEEELi4ELNS_26BlockGemmPipelineSchedulerE1ELNS_24BlockGemmPipelineVersionE1EDF16_DF16_Lb0ELb1ELb0ELi0ELb0EEELb1ELNS_25InMemoryDataOperationEnumE0ELi2ELNS_10TailNumberE2EEEvNT_8ArgumentE, .Lfunc_end7-_ZN2ck27kernel_gemm_xdl_cshuffle_v3INS_28GridwiseGemm_xdl_cshuffle_v3INS_13tensor_layout4gemm8RowMajorENS3_11ColumnMajorES4_DF16_NS_7pk_i4_tEfDF16_DF16_NS_16tensor_operation12element_wise11PassThroughES9_S9_LNS7_6device18GemmSpecializationE0ELi128ELi16ELi128ELi128ELi8ELi32ELi16ELi16ELi1ELi2ENS_8SequenceIJLi16ELi8ELi1EEEENSC_IJLi1ELi0ELi2EEEESE_Li2ELi8ELi8ELb0ELi0ENSC_IJLi4ELi32ELi1EEEESE_SE_Li2ELi32ELi32ELb0ELi0ELi1ELi1ENSC_IJLi1ELi16ELi1ELi8EEEELi4ELNS_26BlockGemmPipelineSchedulerE1ELNS_24BlockGemmPipelineVersionE1EDF16_DF16_Lb0ELb1ELb0ELi0ELb0EEELb1ELNS_25InMemoryDataOperationEnumE0ELi2ELNS_10TailNumberE2EEEvNT_8ArgumentE
                                        ; -- End function
	.set _ZN2ck27kernel_gemm_xdl_cshuffle_v3INS_28GridwiseGemm_xdl_cshuffle_v3INS_13tensor_layout4gemm8RowMajorENS3_11ColumnMajorES4_DF16_NS_7pk_i4_tEfDF16_DF16_NS_16tensor_operation12element_wise11PassThroughES9_S9_LNS7_6device18GemmSpecializationE0ELi128ELi16ELi128ELi128ELi8ELi32ELi16ELi16ELi1ELi2ENS_8SequenceIJLi16ELi8ELi1EEEENSC_IJLi1ELi0ELi2EEEESE_Li2ELi8ELi8ELb0ELi0ENSC_IJLi4ELi32ELi1EEEESE_SE_Li2ELi32ELi32ELb0ELi0ELi1ELi1ENSC_IJLi1ELi16ELi1ELi8EEEELi4ELNS_26BlockGemmPipelineSchedulerE1ELNS_24BlockGemmPipelineVersionE1EDF16_DF16_Lb0ELb1ELb0ELi0ELb0EEELb1ELNS_25InMemoryDataOperationEnumE0ELi2ELNS_10TailNumberE2EEEvNT_8ArgumentE.num_vgpr, 0
	.set _ZN2ck27kernel_gemm_xdl_cshuffle_v3INS_28GridwiseGemm_xdl_cshuffle_v3INS_13tensor_layout4gemm8RowMajorENS3_11ColumnMajorES4_DF16_NS_7pk_i4_tEfDF16_DF16_NS_16tensor_operation12element_wise11PassThroughES9_S9_LNS7_6device18GemmSpecializationE0ELi128ELi16ELi128ELi128ELi8ELi32ELi16ELi16ELi1ELi2ENS_8SequenceIJLi16ELi8ELi1EEEENSC_IJLi1ELi0ELi2EEEESE_Li2ELi8ELi8ELb0ELi0ENSC_IJLi4ELi32ELi1EEEESE_SE_Li2ELi32ELi32ELb0ELi0ELi1ELi1ENSC_IJLi1ELi16ELi1ELi8EEEELi4ELNS_26BlockGemmPipelineSchedulerE1ELNS_24BlockGemmPipelineVersionE1EDF16_DF16_Lb0ELb1ELb0ELi0ELb0EEELb1ELNS_25InMemoryDataOperationEnumE0ELi2ELNS_10TailNumberE2EEEvNT_8ArgumentE.num_agpr, 0
	.set _ZN2ck27kernel_gemm_xdl_cshuffle_v3INS_28GridwiseGemm_xdl_cshuffle_v3INS_13tensor_layout4gemm8RowMajorENS3_11ColumnMajorES4_DF16_NS_7pk_i4_tEfDF16_DF16_NS_16tensor_operation12element_wise11PassThroughES9_S9_LNS7_6device18GemmSpecializationE0ELi128ELi16ELi128ELi128ELi8ELi32ELi16ELi16ELi1ELi2ENS_8SequenceIJLi16ELi8ELi1EEEENSC_IJLi1ELi0ELi2EEEESE_Li2ELi8ELi8ELb0ELi0ENSC_IJLi4ELi32ELi1EEEESE_SE_Li2ELi32ELi32ELb0ELi0ELi1ELi1ENSC_IJLi1ELi16ELi1ELi8EEEELi4ELNS_26BlockGemmPipelineSchedulerE1ELNS_24BlockGemmPipelineVersionE1EDF16_DF16_Lb0ELb1ELb0ELi0ELb0EEELb1ELNS_25InMemoryDataOperationEnumE0ELi2ELNS_10TailNumberE2EEEvNT_8ArgumentE.numbered_sgpr, 0
	.set _ZN2ck27kernel_gemm_xdl_cshuffle_v3INS_28GridwiseGemm_xdl_cshuffle_v3INS_13tensor_layout4gemm8RowMajorENS3_11ColumnMajorES4_DF16_NS_7pk_i4_tEfDF16_DF16_NS_16tensor_operation12element_wise11PassThroughES9_S9_LNS7_6device18GemmSpecializationE0ELi128ELi16ELi128ELi128ELi8ELi32ELi16ELi16ELi1ELi2ENS_8SequenceIJLi16ELi8ELi1EEEENSC_IJLi1ELi0ELi2EEEESE_Li2ELi8ELi8ELb0ELi0ENSC_IJLi4ELi32ELi1EEEESE_SE_Li2ELi32ELi32ELb0ELi0ELi1ELi1ENSC_IJLi1ELi16ELi1ELi8EEEELi4ELNS_26BlockGemmPipelineSchedulerE1ELNS_24BlockGemmPipelineVersionE1EDF16_DF16_Lb0ELb1ELb0ELi0ELb0EEELb1ELNS_25InMemoryDataOperationEnumE0ELi2ELNS_10TailNumberE2EEEvNT_8ArgumentE.num_named_barrier, 0
	.set _ZN2ck27kernel_gemm_xdl_cshuffle_v3INS_28GridwiseGemm_xdl_cshuffle_v3INS_13tensor_layout4gemm8RowMajorENS3_11ColumnMajorES4_DF16_NS_7pk_i4_tEfDF16_DF16_NS_16tensor_operation12element_wise11PassThroughES9_S9_LNS7_6device18GemmSpecializationE0ELi128ELi16ELi128ELi128ELi8ELi32ELi16ELi16ELi1ELi2ENS_8SequenceIJLi16ELi8ELi1EEEENSC_IJLi1ELi0ELi2EEEESE_Li2ELi8ELi8ELb0ELi0ENSC_IJLi4ELi32ELi1EEEESE_SE_Li2ELi32ELi32ELb0ELi0ELi1ELi1ENSC_IJLi1ELi16ELi1ELi8EEEELi4ELNS_26BlockGemmPipelineSchedulerE1ELNS_24BlockGemmPipelineVersionE1EDF16_DF16_Lb0ELb1ELb0ELi0ELb0EEELb1ELNS_25InMemoryDataOperationEnumE0ELi2ELNS_10TailNumberE2EEEvNT_8ArgumentE.private_seg_size, 0
	.set _ZN2ck27kernel_gemm_xdl_cshuffle_v3INS_28GridwiseGemm_xdl_cshuffle_v3INS_13tensor_layout4gemm8RowMajorENS3_11ColumnMajorES4_DF16_NS_7pk_i4_tEfDF16_DF16_NS_16tensor_operation12element_wise11PassThroughES9_S9_LNS7_6device18GemmSpecializationE0ELi128ELi16ELi128ELi128ELi8ELi32ELi16ELi16ELi1ELi2ENS_8SequenceIJLi16ELi8ELi1EEEENSC_IJLi1ELi0ELi2EEEESE_Li2ELi8ELi8ELb0ELi0ENSC_IJLi4ELi32ELi1EEEESE_SE_Li2ELi32ELi32ELb0ELi0ELi1ELi1ENSC_IJLi1ELi16ELi1ELi8EEEELi4ELNS_26BlockGemmPipelineSchedulerE1ELNS_24BlockGemmPipelineVersionE1EDF16_DF16_Lb0ELb1ELb0ELi0ELb0EEELb1ELNS_25InMemoryDataOperationEnumE0ELi2ELNS_10TailNumberE2EEEvNT_8ArgumentE.uses_vcc, 0
	.set _ZN2ck27kernel_gemm_xdl_cshuffle_v3INS_28GridwiseGemm_xdl_cshuffle_v3INS_13tensor_layout4gemm8RowMajorENS3_11ColumnMajorES4_DF16_NS_7pk_i4_tEfDF16_DF16_NS_16tensor_operation12element_wise11PassThroughES9_S9_LNS7_6device18GemmSpecializationE0ELi128ELi16ELi128ELi128ELi8ELi32ELi16ELi16ELi1ELi2ENS_8SequenceIJLi16ELi8ELi1EEEENSC_IJLi1ELi0ELi2EEEESE_Li2ELi8ELi8ELb0ELi0ENSC_IJLi4ELi32ELi1EEEESE_SE_Li2ELi32ELi32ELb0ELi0ELi1ELi1ENSC_IJLi1ELi16ELi1ELi8EEEELi4ELNS_26BlockGemmPipelineSchedulerE1ELNS_24BlockGemmPipelineVersionE1EDF16_DF16_Lb0ELb1ELb0ELi0ELb0EEELb1ELNS_25InMemoryDataOperationEnumE0ELi2ELNS_10TailNumberE2EEEvNT_8ArgumentE.uses_flat_scratch, 0
	.set _ZN2ck27kernel_gemm_xdl_cshuffle_v3INS_28GridwiseGemm_xdl_cshuffle_v3INS_13tensor_layout4gemm8RowMajorENS3_11ColumnMajorES4_DF16_NS_7pk_i4_tEfDF16_DF16_NS_16tensor_operation12element_wise11PassThroughES9_S9_LNS7_6device18GemmSpecializationE0ELi128ELi16ELi128ELi128ELi8ELi32ELi16ELi16ELi1ELi2ENS_8SequenceIJLi16ELi8ELi1EEEENSC_IJLi1ELi0ELi2EEEESE_Li2ELi8ELi8ELb0ELi0ENSC_IJLi4ELi32ELi1EEEESE_SE_Li2ELi32ELi32ELb0ELi0ELi1ELi1ENSC_IJLi1ELi16ELi1ELi8EEEELi4ELNS_26BlockGemmPipelineSchedulerE1ELNS_24BlockGemmPipelineVersionE1EDF16_DF16_Lb0ELb1ELb0ELi0ELb0EEELb1ELNS_25InMemoryDataOperationEnumE0ELi2ELNS_10TailNumberE2EEEvNT_8ArgumentE.has_dyn_sized_stack, 0
	.set _ZN2ck27kernel_gemm_xdl_cshuffle_v3INS_28GridwiseGemm_xdl_cshuffle_v3INS_13tensor_layout4gemm8RowMajorENS3_11ColumnMajorES4_DF16_NS_7pk_i4_tEfDF16_DF16_NS_16tensor_operation12element_wise11PassThroughES9_S9_LNS7_6device18GemmSpecializationE0ELi128ELi16ELi128ELi128ELi8ELi32ELi16ELi16ELi1ELi2ENS_8SequenceIJLi16ELi8ELi1EEEENSC_IJLi1ELi0ELi2EEEESE_Li2ELi8ELi8ELb0ELi0ENSC_IJLi4ELi32ELi1EEEESE_SE_Li2ELi32ELi32ELb0ELi0ELi1ELi1ENSC_IJLi1ELi16ELi1ELi8EEEELi4ELNS_26BlockGemmPipelineSchedulerE1ELNS_24BlockGemmPipelineVersionE1EDF16_DF16_Lb0ELb1ELb0ELi0ELb0EEELb1ELNS_25InMemoryDataOperationEnumE0ELi2ELNS_10TailNumberE2EEEvNT_8ArgumentE.has_recursion, 0
	.set _ZN2ck27kernel_gemm_xdl_cshuffle_v3INS_28GridwiseGemm_xdl_cshuffle_v3INS_13tensor_layout4gemm8RowMajorENS3_11ColumnMajorES4_DF16_NS_7pk_i4_tEfDF16_DF16_NS_16tensor_operation12element_wise11PassThroughES9_S9_LNS7_6device18GemmSpecializationE0ELi128ELi16ELi128ELi128ELi8ELi32ELi16ELi16ELi1ELi2ENS_8SequenceIJLi16ELi8ELi1EEEENSC_IJLi1ELi0ELi2EEEESE_Li2ELi8ELi8ELb0ELi0ENSC_IJLi4ELi32ELi1EEEESE_SE_Li2ELi32ELi32ELb0ELi0ELi1ELi1ENSC_IJLi1ELi16ELi1ELi8EEEELi4ELNS_26BlockGemmPipelineSchedulerE1ELNS_24BlockGemmPipelineVersionE1EDF16_DF16_Lb0ELb1ELb0ELi0ELb0EEELb1ELNS_25InMemoryDataOperationEnumE0ELi2ELNS_10TailNumberE2EEEvNT_8ArgumentE.has_indirect_call, 0
	.section	.AMDGPU.csdata,"",@progbits
; Kernel info:
; codeLenInByte = 4
; TotalNumSgprs: 6
; NumVgprs: 0
; NumAgprs: 0
; TotalNumVgprs: 0
; ScratchSize: 0
; MemoryBound: 0
; FloatMode: 240
; IeeeMode: 1
; LDSByteSize: 0 bytes/workgroup (compile time only)
; SGPRBlocks: 0
; VGPRBlocks: 0
; NumSGPRsForWavesPerEU: 6
; NumVGPRsForWavesPerEU: 1
; AccumOffset: 4
; Occupancy: 8
; WaveLimiterHint : 0
; COMPUTE_PGM_RSRC2:SCRATCH_EN: 0
; COMPUTE_PGM_RSRC2:USER_SGPR: 2
; COMPUTE_PGM_RSRC2:TRAP_HANDLER: 0
; COMPUTE_PGM_RSRC2:TGID_X_EN: 1
; COMPUTE_PGM_RSRC2:TGID_Y_EN: 0
; COMPUTE_PGM_RSRC2:TGID_Z_EN: 0
; COMPUTE_PGM_RSRC2:TIDIG_COMP_CNT: 0
; COMPUTE_PGM_RSRC3_GFX90A:ACCUM_OFFSET: 0
; COMPUTE_PGM_RSRC3_GFX90A:TG_SPLIT: 0
	.section	.text._ZN2ck27kernel_gemm_xdl_cshuffle_v3INS_28GridwiseGemm_xdl_cshuffle_v3INS_13tensor_layout4gemm8RowMajorENS3_11ColumnMajorES4_DF16_NS_7pk_i4_tEfDF16_DF16_NS_16tensor_operation12element_wise11PassThroughES9_S9_LNS7_6device18GemmSpecializationE0ELi128ELi16ELi128ELi128ELi8ELi32ELi16ELi16ELi1ELi2ENS_8SequenceIJLi16ELi8ELi1EEEENSC_IJLi1ELi0ELi2EEEESE_Li2ELi8ELi8ELb0ELi0ENSC_IJLi4ELi32ELi1EEEESE_SE_Li2ELi32ELi32ELb0ELi0ELi1ELi1ENSC_IJLi1ELi16ELi1ELi8EEEELi4ELNS_26BlockGemmPipelineSchedulerE1ELNS_24BlockGemmPipelineVersionE1EDF16_DF16_Lb0ELb1ELb0ELi0ELb0EEELb1ELNS_25InMemoryDataOperationEnumE0ELi2ELNS_10TailNumberE10EEEvNT_8ArgumentE,"axG",@progbits,_ZN2ck27kernel_gemm_xdl_cshuffle_v3INS_28GridwiseGemm_xdl_cshuffle_v3INS_13tensor_layout4gemm8RowMajorENS3_11ColumnMajorES4_DF16_NS_7pk_i4_tEfDF16_DF16_NS_16tensor_operation12element_wise11PassThroughES9_S9_LNS7_6device18GemmSpecializationE0ELi128ELi16ELi128ELi128ELi8ELi32ELi16ELi16ELi1ELi2ENS_8SequenceIJLi16ELi8ELi1EEEENSC_IJLi1ELi0ELi2EEEESE_Li2ELi8ELi8ELb0ELi0ENSC_IJLi4ELi32ELi1EEEESE_SE_Li2ELi32ELi32ELb0ELi0ELi1ELi1ENSC_IJLi1ELi16ELi1ELi8EEEELi4ELNS_26BlockGemmPipelineSchedulerE1ELNS_24BlockGemmPipelineVersionE1EDF16_DF16_Lb0ELb1ELb0ELi0ELb0EEELb1ELNS_25InMemoryDataOperationEnumE0ELi2ELNS_10TailNumberE10EEEvNT_8ArgumentE,comdat
	.protected	_ZN2ck27kernel_gemm_xdl_cshuffle_v3INS_28GridwiseGemm_xdl_cshuffle_v3INS_13tensor_layout4gemm8RowMajorENS3_11ColumnMajorES4_DF16_NS_7pk_i4_tEfDF16_DF16_NS_16tensor_operation12element_wise11PassThroughES9_S9_LNS7_6device18GemmSpecializationE0ELi128ELi16ELi128ELi128ELi8ELi32ELi16ELi16ELi1ELi2ENS_8SequenceIJLi16ELi8ELi1EEEENSC_IJLi1ELi0ELi2EEEESE_Li2ELi8ELi8ELb0ELi0ENSC_IJLi4ELi32ELi1EEEESE_SE_Li2ELi32ELi32ELb0ELi0ELi1ELi1ENSC_IJLi1ELi16ELi1ELi8EEEELi4ELNS_26BlockGemmPipelineSchedulerE1ELNS_24BlockGemmPipelineVersionE1EDF16_DF16_Lb0ELb1ELb0ELi0ELb0EEELb1ELNS_25InMemoryDataOperationEnumE0ELi2ELNS_10TailNumberE10EEEvNT_8ArgumentE ; -- Begin function _ZN2ck27kernel_gemm_xdl_cshuffle_v3INS_28GridwiseGemm_xdl_cshuffle_v3INS_13tensor_layout4gemm8RowMajorENS3_11ColumnMajorES4_DF16_NS_7pk_i4_tEfDF16_DF16_NS_16tensor_operation12element_wise11PassThroughES9_S9_LNS7_6device18GemmSpecializationE0ELi128ELi16ELi128ELi128ELi8ELi32ELi16ELi16ELi1ELi2ENS_8SequenceIJLi16ELi8ELi1EEEENSC_IJLi1ELi0ELi2EEEESE_Li2ELi8ELi8ELb0ELi0ENSC_IJLi4ELi32ELi1EEEESE_SE_Li2ELi32ELi32ELb0ELi0ELi1ELi1ENSC_IJLi1ELi16ELi1ELi8EEEELi4ELNS_26BlockGemmPipelineSchedulerE1ELNS_24BlockGemmPipelineVersionE1EDF16_DF16_Lb0ELb1ELb0ELi0ELb0EEELb1ELNS_25InMemoryDataOperationEnumE0ELi2ELNS_10TailNumberE10EEEvNT_8ArgumentE
	.globl	_ZN2ck27kernel_gemm_xdl_cshuffle_v3INS_28GridwiseGemm_xdl_cshuffle_v3INS_13tensor_layout4gemm8RowMajorENS3_11ColumnMajorES4_DF16_NS_7pk_i4_tEfDF16_DF16_NS_16tensor_operation12element_wise11PassThroughES9_S9_LNS7_6device18GemmSpecializationE0ELi128ELi16ELi128ELi128ELi8ELi32ELi16ELi16ELi1ELi2ENS_8SequenceIJLi16ELi8ELi1EEEENSC_IJLi1ELi0ELi2EEEESE_Li2ELi8ELi8ELb0ELi0ENSC_IJLi4ELi32ELi1EEEESE_SE_Li2ELi32ELi32ELb0ELi0ELi1ELi1ENSC_IJLi1ELi16ELi1ELi8EEEELi4ELNS_26BlockGemmPipelineSchedulerE1ELNS_24BlockGemmPipelineVersionE1EDF16_DF16_Lb0ELb1ELb0ELi0ELb0EEELb1ELNS_25InMemoryDataOperationEnumE0ELi2ELNS_10TailNumberE10EEEvNT_8ArgumentE
	.p2align	8
	.type	_ZN2ck27kernel_gemm_xdl_cshuffle_v3INS_28GridwiseGemm_xdl_cshuffle_v3INS_13tensor_layout4gemm8RowMajorENS3_11ColumnMajorES4_DF16_NS_7pk_i4_tEfDF16_DF16_NS_16tensor_operation12element_wise11PassThroughES9_S9_LNS7_6device18GemmSpecializationE0ELi128ELi16ELi128ELi128ELi8ELi32ELi16ELi16ELi1ELi2ENS_8SequenceIJLi16ELi8ELi1EEEENSC_IJLi1ELi0ELi2EEEESE_Li2ELi8ELi8ELb0ELi0ENSC_IJLi4ELi32ELi1EEEESE_SE_Li2ELi32ELi32ELb0ELi0ELi1ELi1ENSC_IJLi1ELi16ELi1ELi8EEEELi4ELNS_26BlockGemmPipelineSchedulerE1ELNS_24BlockGemmPipelineVersionE1EDF16_DF16_Lb0ELb1ELb0ELi0ELb0EEELb1ELNS_25InMemoryDataOperationEnumE0ELi2ELNS_10TailNumberE10EEEvNT_8ArgumentE,@function
_ZN2ck27kernel_gemm_xdl_cshuffle_v3INS_28GridwiseGemm_xdl_cshuffle_v3INS_13tensor_layout4gemm8RowMajorENS3_11ColumnMajorES4_DF16_NS_7pk_i4_tEfDF16_DF16_NS_16tensor_operation12element_wise11PassThroughES9_S9_LNS7_6device18GemmSpecializationE0ELi128ELi16ELi128ELi128ELi8ELi32ELi16ELi16ELi1ELi2ENS_8SequenceIJLi16ELi8ELi1EEEENSC_IJLi1ELi0ELi2EEEESE_Li2ELi8ELi8ELb0ELi0ENSC_IJLi4ELi32ELi1EEEESE_SE_Li2ELi32ELi32ELb0ELi0ELi1ELi1ENSC_IJLi1ELi16ELi1ELi8EEEELi4ELNS_26BlockGemmPipelineSchedulerE1ELNS_24BlockGemmPipelineVersionE1EDF16_DF16_Lb0ELb1ELb0ELi0ELb0EEELb1ELNS_25InMemoryDataOperationEnumE0ELi2ELNS_10TailNumberE10EEEvNT_8ArgumentE: ; @_ZN2ck27kernel_gemm_xdl_cshuffle_v3INS_28GridwiseGemm_xdl_cshuffle_v3INS_13tensor_layout4gemm8RowMajorENS3_11ColumnMajorES4_DF16_NS_7pk_i4_tEfDF16_DF16_NS_16tensor_operation12element_wise11PassThroughES9_S9_LNS7_6device18GemmSpecializationE0ELi128ELi16ELi128ELi128ELi8ELi32ELi16ELi16ELi1ELi2ENS_8SequenceIJLi16ELi8ELi1EEEENSC_IJLi1ELi0ELi2EEEESE_Li2ELi8ELi8ELb0ELi0ENSC_IJLi4ELi32ELi1EEEESE_SE_Li2ELi32ELi32ELb0ELi0ELi1ELi1ENSC_IJLi1ELi16ELi1ELi8EEEELi4ELNS_26BlockGemmPipelineSchedulerE1ELNS_24BlockGemmPipelineVersionE1EDF16_DF16_Lb0ELb1ELb0ELi0ELb0EEELb1ELNS_25InMemoryDataOperationEnumE0ELi2ELNS_10TailNumberE10EEEvNT_8ArgumentE
; %bb.0:
	s_endpgm
	.section	.rodata,"a",@progbits
	.p2align	6, 0x0
	.amdhsa_kernel _ZN2ck27kernel_gemm_xdl_cshuffle_v3INS_28GridwiseGemm_xdl_cshuffle_v3INS_13tensor_layout4gemm8RowMajorENS3_11ColumnMajorES4_DF16_NS_7pk_i4_tEfDF16_DF16_NS_16tensor_operation12element_wise11PassThroughES9_S9_LNS7_6device18GemmSpecializationE0ELi128ELi16ELi128ELi128ELi8ELi32ELi16ELi16ELi1ELi2ENS_8SequenceIJLi16ELi8ELi1EEEENSC_IJLi1ELi0ELi2EEEESE_Li2ELi8ELi8ELb0ELi0ENSC_IJLi4ELi32ELi1EEEESE_SE_Li2ELi32ELi32ELb0ELi0ELi1ELi1ENSC_IJLi1ELi16ELi1ELi8EEEELi4ELNS_26BlockGemmPipelineSchedulerE1ELNS_24BlockGemmPipelineVersionE1EDF16_DF16_Lb0ELb1ELb0ELi0ELb0EEELb1ELNS_25InMemoryDataOperationEnumE0ELi2ELNS_10TailNumberE10EEEvNT_8ArgumentE
		.amdhsa_group_segment_fixed_size 0
		.amdhsa_private_segment_fixed_size 0
		.amdhsa_kernarg_size 112
		.amdhsa_user_sgpr_count 2
		.amdhsa_user_sgpr_dispatch_ptr 0
		.amdhsa_user_sgpr_queue_ptr 0
		.amdhsa_user_sgpr_kernarg_segment_ptr 1
		.amdhsa_user_sgpr_dispatch_id 0
		.amdhsa_user_sgpr_kernarg_preload_length 0
		.amdhsa_user_sgpr_kernarg_preload_offset 0
		.amdhsa_user_sgpr_private_segment_size 0
		.amdhsa_uses_dynamic_stack 0
		.amdhsa_enable_private_segment 0
		.amdhsa_system_sgpr_workgroup_id_x 1
		.amdhsa_system_sgpr_workgroup_id_y 0
		.amdhsa_system_sgpr_workgroup_id_z 0
		.amdhsa_system_sgpr_workgroup_info 0
		.amdhsa_system_vgpr_workitem_id 0
		.amdhsa_next_free_vgpr 1
		.amdhsa_next_free_sgpr 0
		.amdhsa_accum_offset 4
		.amdhsa_reserve_vcc 0
		.amdhsa_float_round_mode_32 0
		.amdhsa_float_round_mode_16_64 0
		.amdhsa_float_denorm_mode_32 3
		.amdhsa_float_denorm_mode_16_64 3
		.amdhsa_dx10_clamp 1
		.amdhsa_ieee_mode 1
		.amdhsa_fp16_overflow 0
		.amdhsa_tg_split 0
		.amdhsa_exception_fp_ieee_invalid_op 0
		.amdhsa_exception_fp_denorm_src 0
		.amdhsa_exception_fp_ieee_div_zero 0
		.amdhsa_exception_fp_ieee_overflow 0
		.amdhsa_exception_fp_ieee_underflow 0
		.amdhsa_exception_fp_ieee_inexact 0
		.amdhsa_exception_int_div_zero 0
	.end_amdhsa_kernel
	.section	.text._ZN2ck27kernel_gemm_xdl_cshuffle_v3INS_28GridwiseGemm_xdl_cshuffle_v3INS_13tensor_layout4gemm8RowMajorENS3_11ColumnMajorES4_DF16_NS_7pk_i4_tEfDF16_DF16_NS_16tensor_operation12element_wise11PassThroughES9_S9_LNS7_6device18GemmSpecializationE0ELi128ELi16ELi128ELi128ELi8ELi32ELi16ELi16ELi1ELi2ENS_8SequenceIJLi16ELi8ELi1EEEENSC_IJLi1ELi0ELi2EEEESE_Li2ELi8ELi8ELb0ELi0ENSC_IJLi4ELi32ELi1EEEESE_SE_Li2ELi32ELi32ELb0ELi0ELi1ELi1ENSC_IJLi1ELi16ELi1ELi8EEEELi4ELNS_26BlockGemmPipelineSchedulerE1ELNS_24BlockGemmPipelineVersionE1EDF16_DF16_Lb0ELb1ELb0ELi0ELb0EEELb1ELNS_25InMemoryDataOperationEnumE0ELi2ELNS_10TailNumberE10EEEvNT_8ArgumentE,"axG",@progbits,_ZN2ck27kernel_gemm_xdl_cshuffle_v3INS_28GridwiseGemm_xdl_cshuffle_v3INS_13tensor_layout4gemm8RowMajorENS3_11ColumnMajorES4_DF16_NS_7pk_i4_tEfDF16_DF16_NS_16tensor_operation12element_wise11PassThroughES9_S9_LNS7_6device18GemmSpecializationE0ELi128ELi16ELi128ELi128ELi8ELi32ELi16ELi16ELi1ELi2ENS_8SequenceIJLi16ELi8ELi1EEEENSC_IJLi1ELi0ELi2EEEESE_Li2ELi8ELi8ELb0ELi0ENSC_IJLi4ELi32ELi1EEEESE_SE_Li2ELi32ELi32ELb0ELi0ELi1ELi1ENSC_IJLi1ELi16ELi1ELi8EEEELi4ELNS_26BlockGemmPipelineSchedulerE1ELNS_24BlockGemmPipelineVersionE1EDF16_DF16_Lb0ELb1ELb0ELi0ELb0EEELb1ELNS_25InMemoryDataOperationEnumE0ELi2ELNS_10TailNumberE10EEEvNT_8ArgumentE,comdat
.Lfunc_end8:
	.size	_ZN2ck27kernel_gemm_xdl_cshuffle_v3INS_28GridwiseGemm_xdl_cshuffle_v3INS_13tensor_layout4gemm8RowMajorENS3_11ColumnMajorES4_DF16_NS_7pk_i4_tEfDF16_DF16_NS_16tensor_operation12element_wise11PassThroughES9_S9_LNS7_6device18GemmSpecializationE0ELi128ELi16ELi128ELi128ELi8ELi32ELi16ELi16ELi1ELi2ENS_8SequenceIJLi16ELi8ELi1EEEENSC_IJLi1ELi0ELi2EEEESE_Li2ELi8ELi8ELb0ELi0ENSC_IJLi4ELi32ELi1EEEESE_SE_Li2ELi32ELi32ELb0ELi0ELi1ELi1ENSC_IJLi1ELi16ELi1ELi8EEEELi4ELNS_26BlockGemmPipelineSchedulerE1ELNS_24BlockGemmPipelineVersionE1EDF16_DF16_Lb0ELb1ELb0ELi0ELb0EEELb1ELNS_25InMemoryDataOperationEnumE0ELi2ELNS_10TailNumberE10EEEvNT_8ArgumentE, .Lfunc_end8-_ZN2ck27kernel_gemm_xdl_cshuffle_v3INS_28GridwiseGemm_xdl_cshuffle_v3INS_13tensor_layout4gemm8RowMajorENS3_11ColumnMajorES4_DF16_NS_7pk_i4_tEfDF16_DF16_NS_16tensor_operation12element_wise11PassThroughES9_S9_LNS7_6device18GemmSpecializationE0ELi128ELi16ELi128ELi128ELi8ELi32ELi16ELi16ELi1ELi2ENS_8SequenceIJLi16ELi8ELi1EEEENSC_IJLi1ELi0ELi2EEEESE_Li2ELi8ELi8ELb0ELi0ENSC_IJLi4ELi32ELi1EEEESE_SE_Li2ELi32ELi32ELb0ELi0ELi1ELi1ENSC_IJLi1ELi16ELi1ELi8EEEELi4ELNS_26BlockGemmPipelineSchedulerE1ELNS_24BlockGemmPipelineVersionE1EDF16_DF16_Lb0ELb1ELb0ELi0ELb0EEELb1ELNS_25InMemoryDataOperationEnumE0ELi2ELNS_10TailNumberE10EEEvNT_8ArgumentE
                                        ; -- End function
	.set _ZN2ck27kernel_gemm_xdl_cshuffle_v3INS_28GridwiseGemm_xdl_cshuffle_v3INS_13tensor_layout4gemm8RowMajorENS3_11ColumnMajorES4_DF16_NS_7pk_i4_tEfDF16_DF16_NS_16tensor_operation12element_wise11PassThroughES9_S9_LNS7_6device18GemmSpecializationE0ELi128ELi16ELi128ELi128ELi8ELi32ELi16ELi16ELi1ELi2ENS_8SequenceIJLi16ELi8ELi1EEEENSC_IJLi1ELi0ELi2EEEESE_Li2ELi8ELi8ELb0ELi0ENSC_IJLi4ELi32ELi1EEEESE_SE_Li2ELi32ELi32ELb0ELi0ELi1ELi1ENSC_IJLi1ELi16ELi1ELi8EEEELi4ELNS_26BlockGemmPipelineSchedulerE1ELNS_24BlockGemmPipelineVersionE1EDF16_DF16_Lb0ELb1ELb0ELi0ELb0EEELb1ELNS_25InMemoryDataOperationEnumE0ELi2ELNS_10TailNumberE10EEEvNT_8ArgumentE.num_vgpr, 0
	.set _ZN2ck27kernel_gemm_xdl_cshuffle_v3INS_28GridwiseGemm_xdl_cshuffle_v3INS_13tensor_layout4gemm8RowMajorENS3_11ColumnMajorES4_DF16_NS_7pk_i4_tEfDF16_DF16_NS_16tensor_operation12element_wise11PassThroughES9_S9_LNS7_6device18GemmSpecializationE0ELi128ELi16ELi128ELi128ELi8ELi32ELi16ELi16ELi1ELi2ENS_8SequenceIJLi16ELi8ELi1EEEENSC_IJLi1ELi0ELi2EEEESE_Li2ELi8ELi8ELb0ELi0ENSC_IJLi4ELi32ELi1EEEESE_SE_Li2ELi32ELi32ELb0ELi0ELi1ELi1ENSC_IJLi1ELi16ELi1ELi8EEEELi4ELNS_26BlockGemmPipelineSchedulerE1ELNS_24BlockGemmPipelineVersionE1EDF16_DF16_Lb0ELb1ELb0ELi0ELb0EEELb1ELNS_25InMemoryDataOperationEnumE0ELi2ELNS_10TailNumberE10EEEvNT_8ArgumentE.num_agpr, 0
	.set _ZN2ck27kernel_gemm_xdl_cshuffle_v3INS_28GridwiseGemm_xdl_cshuffle_v3INS_13tensor_layout4gemm8RowMajorENS3_11ColumnMajorES4_DF16_NS_7pk_i4_tEfDF16_DF16_NS_16tensor_operation12element_wise11PassThroughES9_S9_LNS7_6device18GemmSpecializationE0ELi128ELi16ELi128ELi128ELi8ELi32ELi16ELi16ELi1ELi2ENS_8SequenceIJLi16ELi8ELi1EEEENSC_IJLi1ELi0ELi2EEEESE_Li2ELi8ELi8ELb0ELi0ENSC_IJLi4ELi32ELi1EEEESE_SE_Li2ELi32ELi32ELb0ELi0ELi1ELi1ENSC_IJLi1ELi16ELi1ELi8EEEELi4ELNS_26BlockGemmPipelineSchedulerE1ELNS_24BlockGemmPipelineVersionE1EDF16_DF16_Lb0ELb1ELb0ELi0ELb0EEELb1ELNS_25InMemoryDataOperationEnumE0ELi2ELNS_10TailNumberE10EEEvNT_8ArgumentE.numbered_sgpr, 0
	.set _ZN2ck27kernel_gemm_xdl_cshuffle_v3INS_28GridwiseGemm_xdl_cshuffle_v3INS_13tensor_layout4gemm8RowMajorENS3_11ColumnMajorES4_DF16_NS_7pk_i4_tEfDF16_DF16_NS_16tensor_operation12element_wise11PassThroughES9_S9_LNS7_6device18GemmSpecializationE0ELi128ELi16ELi128ELi128ELi8ELi32ELi16ELi16ELi1ELi2ENS_8SequenceIJLi16ELi8ELi1EEEENSC_IJLi1ELi0ELi2EEEESE_Li2ELi8ELi8ELb0ELi0ENSC_IJLi4ELi32ELi1EEEESE_SE_Li2ELi32ELi32ELb0ELi0ELi1ELi1ENSC_IJLi1ELi16ELi1ELi8EEEELi4ELNS_26BlockGemmPipelineSchedulerE1ELNS_24BlockGemmPipelineVersionE1EDF16_DF16_Lb0ELb1ELb0ELi0ELb0EEELb1ELNS_25InMemoryDataOperationEnumE0ELi2ELNS_10TailNumberE10EEEvNT_8ArgumentE.num_named_barrier, 0
	.set _ZN2ck27kernel_gemm_xdl_cshuffle_v3INS_28GridwiseGemm_xdl_cshuffle_v3INS_13tensor_layout4gemm8RowMajorENS3_11ColumnMajorES4_DF16_NS_7pk_i4_tEfDF16_DF16_NS_16tensor_operation12element_wise11PassThroughES9_S9_LNS7_6device18GemmSpecializationE0ELi128ELi16ELi128ELi128ELi8ELi32ELi16ELi16ELi1ELi2ENS_8SequenceIJLi16ELi8ELi1EEEENSC_IJLi1ELi0ELi2EEEESE_Li2ELi8ELi8ELb0ELi0ENSC_IJLi4ELi32ELi1EEEESE_SE_Li2ELi32ELi32ELb0ELi0ELi1ELi1ENSC_IJLi1ELi16ELi1ELi8EEEELi4ELNS_26BlockGemmPipelineSchedulerE1ELNS_24BlockGemmPipelineVersionE1EDF16_DF16_Lb0ELb1ELb0ELi0ELb0EEELb1ELNS_25InMemoryDataOperationEnumE0ELi2ELNS_10TailNumberE10EEEvNT_8ArgumentE.private_seg_size, 0
	.set _ZN2ck27kernel_gemm_xdl_cshuffle_v3INS_28GridwiseGemm_xdl_cshuffle_v3INS_13tensor_layout4gemm8RowMajorENS3_11ColumnMajorES4_DF16_NS_7pk_i4_tEfDF16_DF16_NS_16tensor_operation12element_wise11PassThroughES9_S9_LNS7_6device18GemmSpecializationE0ELi128ELi16ELi128ELi128ELi8ELi32ELi16ELi16ELi1ELi2ENS_8SequenceIJLi16ELi8ELi1EEEENSC_IJLi1ELi0ELi2EEEESE_Li2ELi8ELi8ELb0ELi0ENSC_IJLi4ELi32ELi1EEEESE_SE_Li2ELi32ELi32ELb0ELi0ELi1ELi1ENSC_IJLi1ELi16ELi1ELi8EEEELi4ELNS_26BlockGemmPipelineSchedulerE1ELNS_24BlockGemmPipelineVersionE1EDF16_DF16_Lb0ELb1ELb0ELi0ELb0EEELb1ELNS_25InMemoryDataOperationEnumE0ELi2ELNS_10TailNumberE10EEEvNT_8ArgumentE.uses_vcc, 0
	.set _ZN2ck27kernel_gemm_xdl_cshuffle_v3INS_28GridwiseGemm_xdl_cshuffle_v3INS_13tensor_layout4gemm8RowMajorENS3_11ColumnMajorES4_DF16_NS_7pk_i4_tEfDF16_DF16_NS_16tensor_operation12element_wise11PassThroughES9_S9_LNS7_6device18GemmSpecializationE0ELi128ELi16ELi128ELi128ELi8ELi32ELi16ELi16ELi1ELi2ENS_8SequenceIJLi16ELi8ELi1EEEENSC_IJLi1ELi0ELi2EEEESE_Li2ELi8ELi8ELb0ELi0ENSC_IJLi4ELi32ELi1EEEESE_SE_Li2ELi32ELi32ELb0ELi0ELi1ELi1ENSC_IJLi1ELi16ELi1ELi8EEEELi4ELNS_26BlockGemmPipelineSchedulerE1ELNS_24BlockGemmPipelineVersionE1EDF16_DF16_Lb0ELb1ELb0ELi0ELb0EEELb1ELNS_25InMemoryDataOperationEnumE0ELi2ELNS_10TailNumberE10EEEvNT_8ArgumentE.uses_flat_scratch, 0
	.set _ZN2ck27kernel_gemm_xdl_cshuffle_v3INS_28GridwiseGemm_xdl_cshuffle_v3INS_13tensor_layout4gemm8RowMajorENS3_11ColumnMajorES4_DF16_NS_7pk_i4_tEfDF16_DF16_NS_16tensor_operation12element_wise11PassThroughES9_S9_LNS7_6device18GemmSpecializationE0ELi128ELi16ELi128ELi128ELi8ELi32ELi16ELi16ELi1ELi2ENS_8SequenceIJLi16ELi8ELi1EEEENSC_IJLi1ELi0ELi2EEEESE_Li2ELi8ELi8ELb0ELi0ENSC_IJLi4ELi32ELi1EEEESE_SE_Li2ELi32ELi32ELb0ELi0ELi1ELi1ENSC_IJLi1ELi16ELi1ELi8EEEELi4ELNS_26BlockGemmPipelineSchedulerE1ELNS_24BlockGemmPipelineVersionE1EDF16_DF16_Lb0ELb1ELb0ELi0ELb0EEELb1ELNS_25InMemoryDataOperationEnumE0ELi2ELNS_10TailNumberE10EEEvNT_8ArgumentE.has_dyn_sized_stack, 0
	.set _ZN2ck27kernel_gemm_xdl_cshuffle_v3INS_28GridwiseGemm_xdl_cshuffle_v3INS_13tensor_layout4gemm8RowMajorENS3_11ColumnMajorES4_DF16_NS_7pk_i4_tEfDF16_DF16_NS_16tensor_operation12element_wise11PassThroughES9_S9_LNS7_6device18GemmSpecializationE0ELi128ELi16ELi128ELi128ELi8ELi32ELi16ELi16ELi1ELi2ENS_8SequenceIJLi16ELi8ELi1EEEENSC_IJLi1ELi0ELi2EEEESE_Li2ELi8ELi8ELb0ELi0ENSC_IJLi4ELi32ELi1EEEESE_SE_Li2ELi32ELi32ELb0ELi0ELi1ELi1ENSC_IJLi1ELi16ELi1ELi8EEEELi4ELNS_26BlockGemmPipelineSchedulerE1ELNS_24BlockGemmPipelineVersionE1EDF16_DF16_Lb0ELb1ELb0ELi0ELb0EEELb1ELNS_25InMemoryDataOperationEnumE0ELi2ELNS_10TailNumberE10EEEvNT_8ArgumentE.has_recursion, 0
	.set _ZN2ck27kernel_gemm_xdl_cshuffle_v3INS_28GridwiseGemm_xdl_cshuffle_v3INS_13tensor_layout4gemm8RowMajorENS3_11ColumnMajorES4_DF16_NS_7pk_i4_tEfDF16_DF16_NS_16tensor_operation12element_wise11PassThroughES9_S9_LNS7_6device18GemmSpecializationE0ELi128ELi16ELi128ELi128ELi8ELi32ELi16ELi16ELi1ELi2ENS_8SequenceIJLi16ELi8ELi1EEEENSC_IJLi1ELi0ELi2EEEESE_Li2ELi8ELi8ELb0ELi0ENSC_IJLi4ELi32ELi1EEEESE_SE_Li2ELi32ELi32ELb0ELi0ELi1ELi1ENSC_IJLi1ELi16ELi1ELi8EEEELi4ELNS_26BlockGemmPipelineSchedulerE1ELNS_24BlockGemmPipelineVersionE1EDF16_DF16_Lb0ELb1ELb0ELi0ELb0EEELb1ELNS_25InMemoryDataOperationEnumE0ELi2ELNS_10TailNumberE10EEEvNT_8ArgumentE.has_indirect_call, 0
	.section	.AMDGPU.csdata,"",@progbits
; Kernel info:
; codeLenInByte = 4
; TotalNumSgprs: 6
; NumVgprs: 0
; NumAgprs: 0
; TotalNumVgprs: 0
; ScratchSize: 0
; MemoryBound: 0
; FloatMode: 240
; IeeeMode: 1
; LDSByteSize: 0 bytes/workgroup (compile time only)
; SGPRBlocks: 0
; VGPRBlocks: 0
; NumSGPRsForWavesPerEU: 6
; NumVGPRsForWavesPerEU: 1
; AccumOffset: 4
; Occupancy: 8
; WaveLimiterHint : 0
; COMPUTE_PGM_RSRC2:SCRATCH_EN: 0
; COMPUTE_PGM_RSRC2:USER_SGPR: 2
; COMPUTE_PGM_RSRC2:TRAP_HANDLER: 0
; COMPUTE_PGM_RSRC2:TGID_X_EN: 1
; COMPUTE_PGM_RSRC2:TGID_Y_EN: 0
; COMPUTE_PGM_RSRC2:TGID_Z_EN: 0
; COMPUTE_PGM_RSRC2:TIDIG_COMP_CNT: 0
; COMPUTE_PGM_RSRC3_GFX90A:ACCUM_OFFSET: 0
; COMPUTE_PGM_RSRC3_GFX90A:TG_SPLIT: 0
	.section	.AMDGPU.gpr_maximums,"",@progbits
	.set amdgpu.max_num_vgpr, 0
	.set amdgpu.max_num_agpr, 0
	.set amdgpu.max_num_sgpr, 0
	.section	.AMDGPU.csdata,"",@progbits
	.type	__hip_cuid_d614e0b9df2b85bd,@object ; @__hip_cuid_d614e0b9df2b85bd
	.section	.bss,"aw",@nobits
	.globl	__hip_cuid_d614e0b9df2b85bd
__hip_cuid_d614e0b9df2b85bd:
	.byte	0                               ; 0x0
	.size	__hip_cuid_d614e0b9df2b85bd, 1

	.ident	"AMD clang version 22.0.0git (https://github.com/RadeonOpenCompute/llvm-project roc-7.2.4 26084 f58b06dce1f9c15707c5f808fd002e18c2accf7e)"
	.section	".note.GNU-stack","",@progbits
	.addrsig
	.addrsig_sym __hip_cuid_d614e0b9df2b85bd
	.amdgpu_metadata
---
amdhsa.kernels:
  - .agpr_count:     0
    .args:           []
    .group_segment_fixed_size: 0
    .kernarg_segment_align: 4
    .kernarg_segment_size: 0
    .language:       OpenCL C
    .language_version:
      - 2
      - 0
    .max_flat_workgroup_size: 1024
    .name:           _ZN2ckL12flush_icacheEv
    .private_segment_fixed_size: 0
    .sgpr_count:     6
    .sgpr_spill_count: 0
    .symbol:         _ZN2ckL12flush_icacheEv.kd
    .uniform_work_group_size: 1
    .uses_dynamic_stack: false
    .vgpr_count:     0
    .vgpr_spill_count: 0
    .wavefront_size: 64
  - .agpr_count:     0
    .args:
      - .offset:         0
        .size:           112
        .value_kind:     by_value
    .group_segment_fixed_size: 12288
    .kernarg_segment_align: 8
    .kernarg_segment_size: 112
    .language:       OpenCL C
    .language_version:
      - 2
      - 0
    .max_flat_workgroup_size: 128
    .name:           _ZN2ck27kernel_gemm_xdl_cshuffle_v3INS_28GridwiseGemm_xdl_cshuffle_v3INS_13tensor_layout4gemm8RowMajorENS3_11ColumnMajorES4_DF16_NS_7pk_i4_tEfDF16_DF16_NS_16tensor_operation12element_wise11PassThroughES9_S9_LNS7_6device18GemmSpecializationE0ELi128ELi16ELi128ELi128ELi8ELi32ELi16ELi16ELi1ELi4ENS_8SequenceIJLi16ELi8ELi1EEEENSC_IJLi1ELi0ELi2EEEESE_Li2ELi8ELi8ELb0ELi0ENSC_IJLi4ELi32ELi1EEEESE_SE_Li2ELi32ELi32ELb0ELi0ELi1ELi1ENSC_IJLi1ELi16ELi1ELi8EEEELi4ELNS_26BlockGemmPipelineSchedulerE1ELNS_24BlockGemmPipelineVersionE1EDF16_DF16_Lb0ELb1ELb0ELi0ELb0EEELb1ELNS_25InMemoryDataOperationEnumE1ELi2ELNS_10TailNumberE2EEEvNT_8ArgumentE
    .private_segment_fixed_size: 0
    .sgpr_count:     36
    .sgpr_spill_count: 0
    .symbol:         _ZN2ck27kernel_gemm_xdl_cshuffle_v3INS_28GridwiseGemm_xdl_cshuffle_v3INS_13tensor_layout4gemm8RowMajorENS3_11ColumnMajorES4_DF16_NS_7pk_i4_tEfDF16_DF16_NS_16tensor_operation12element_wise11PassThroughES9_S9_LNS7_6device18GemmSpecializationE0ELi128ELi16ELi128ELi128ELi8ELi32ELi16ELi16ELi1ELi4ENS_8SequenceIJLi16ELi8ELi1EEEENSC_IJLi1ELi0ELi2EEEESE_Li2ELi8ELi8ELb0ELi0ENSC_IJLi4ELi32ELi1EEEESE_SE_Li2ELi32ELi32ELb0ELi0ELi1ELi1ENSC_IJLi1ELi16ELi1ELi8EEEELi4ELNS_26BlockGemmPipelineSchedulerE1ELNS_24BlockGemmPipelineVersionE1EDF16_DF16_Lb0ELb1ELb0ELi0ELb0EEELb1ELNS_25InMemoryDataOperationEnumE1ELi2ELNS_10TailNumberE2EEEvNT_8ArgumentE.kd
    .uniform_work_group_size: 1
    .uses_dynamic_stack: false
    .vgpr_count:     164
    .vgpr_spill_count: 0
    .wavefront_size: 64
  - .agpr_count:     0
    .args:
      - .offset:         0
        .size:           112
        .value_kind:     by_value
    .group_segment_fixed_size: 12288
    .kernarg_segment_align: 8
    .kernarg_segment_size: 112
    .language:       OpenCL C
    .language_version:
      - 2
      - 0
    .max_flat_workgroup_size: 128
    .name:           _ZN2ck27kernel_gemm_xdl_cshuffle_v3INS_28GridwiseGemm_xdl_cshuffle_v3INS_13tensor_layout4gemm8RowMajorENS3_11ColumnMajorES4_DF16_NS_7pk_i4_tEfDF16_DF16_NS_16tensor_operation12element_wise11PassThroughES9_S9_LNS7_6device18GemmSpecializationE0ELi128ELi16ELi128ELi128ELi8ELi32ELi16ELi16ELi1ELi4ENS_8SequenceIJLi16ELi8ELi1EEEENSC_IJLi1ELi0ELi2EEEESE_Li2ELi8ELi8ELb0ELi0ENSC_IJLi4ELi32ELi1EEEESE_SE_Li2ELi32ELi32ELb0ELi0ELi1ELi1ENSC_IJLi1ELi16ELi1ELi8EEEELi4ELNS_26BlockGemmPipelineSchedulerE1ELNS_24BlockGemmPipelineVersionE1EDF16_DF16_Lb0ELb1ELb0ELi0ELb0EEELb1ELNS_25InMemoryDataOperationEnumE1ELi2ELNS_10TailNumberE10EEEvNT_8ArgumentE
    .private_segment_fixed_size: 0
    .sgpr_count:     36
    .sgpr_spill_count: 0
    .symbol:         _ZN2ck27kernel_gemm_xdl_cshuffle_v3INS_28GridwiseGemm_xdl_cshuffle_v3INS_13tensor_layout4gemm8RowMajorENS3_11ColumnMajorES4_DF16_NS_7pk_i4_tEfDF16_DF16_NS_16tensor_operation12element_wise11PassThroughES9_S9_LNS7_6device18GemmSpecializationE0ELi128ELi16ELi128ELi128ELi8ELi32ELi16ELi16ELi1ELi4ENS_8SequenceIJLi16ELi8ELi1EEEENSC_IJLi1ELi0ELi2EEEESE_Li2ELi8ELi8ELb0ELi0ENSC_IJLi4ELi32ELi1EEEESE_SE_Li2ELi32ELi32ELb0ELi0ELi1ELi1ENSC_IJLi1ELi16ELi1ELi8EEEELi4ELNS_26BlockGemmPipelineSchedulerE1ELNS_24BlockGemmPipelineVersionE1EDF16_DF16_Lb0ELb1ELb0ELi0ELb0EEELb1ELNS_25InMemoryDataOperationEnumE1ELi2ELNS_10TailNumberE10EEEvNT_8ArgumentE.kd
    .uniform_work_group_size: 1
    .uses_dynamic_stack: false
    .vgpr_count:     163
    .vgpr_spill_count: 0
    .wavefront_size: 64
  - .agpr_count:     0
    .args:
      - .offset:         0
        .size:           112
        .value_kind:     by_value
    .group_segment_fixed_size: 12288
    .kernarg_segment_align: 8
    .kernarg_segment_size: 112
    .language:       OpenCL C
    .language_version:
      - 2
      - 0
    .max_flat_workgroup_size: 128
    .name:           _ZN2ck27kernel_gemm_xdl_cshuffle_v3INS_28GridwiseGemm_xdl_cshuffle_v3INS_13tensor_layout4gemm8RowMajorENS3_11ColumnMajorES4_DF16_NS_7pk_i4_tEfDF16_DF16_NS_16tensor_operation12element_wise11PassThroughES9_S9_LNS7_6device18GemmSpecializationE0ELi128ELi16ELi128ELi128ELi8ELi32ELi16ELi16ELi1ELi4ENS_8SequenceIJLi16ELi8ELi1EEEENSC_IJLi1ELi0ELi2EEEESE_Li2ELi8ELi8ELb0ELi0ENSC_IJLi4ELi32ELi1EEEESE_SE_Li2ELi32ELi32ELb0ELi0ELi1ELi1ENSC_IJLi1ELi16ELi1ELi8EEEELi4ELNS_26BlockGemmPipelineSchedulerE1ELNS_24BlockGemmPipelineVersionE1EDF16_DF16_Lb0ELb1ELb0ELi0ELb0EEELb1ELNS_25InMemoryDataOperationEnumE0ELi2ELNS_10TailNumberE2EEEvNT_8ArgumentE
    .private_segment_fixed_size: 0
    .sgpr_count:     36
    .sgpr_spill_count: 0
    .symbol:         _ZN2ck27kernel_gemm_xdl_cshuffle_v3INS_28GridwiseGemm_xdl_cshuffle_v3INS_13tensor_layout4gemm8RowMajorENS3_11ColumnMajorES4_DF16_NS_7pk_i4_tEfDF16_DF16_NS_16tensor_operation12element_wise11PassThroughES9_S9_LNS7_6device18GemmSpecializationE0ELi128ELi16ELi128ELi128ELi8ELi32ELi16ELi16ELi1ELi4ENS_8SequenceIJLi16ELi8ELi1EEEENSC_IJLi1ELi0ELi2EEEESE_Li2ELi8ELi8ELb0ELi0ENSC_IJLi4ELi32ELi1EEEESE_SE_Li2ELi32ELi32ELb0ELi0ELi1ELi1ENSC_IJLi1ELi16ELi1ELi8EEEELi4ELNS_26BlockGemmPipelineSchedulerE1ELNS_24BlockGemmPipelineVersionE1EDF16_DF16_Lb0ELb1ELb0ELi0ELb0EEELb1ELNS_25InMemoryDataOperationEnumE0ELi2ELNS_10TailNumberE2EEEvNT_8ArgumentE.kd
    .uniform_work_group_size: 1
    .uses_dynamic_stack: false
    .vgpr_count:     164
    .vgpr_spill_count: 0
    .wavefront_size: 64
  - .agpr_count:     0
    .args:
      - .offset:         0
        .size:           112
        .value_kind:     by_value
    .group_segment_fixed_size: 12288
    .kernarg_segment_align: 8
    .kernarg_segment_size: 112
    .language:       OpenCL C
    .language_version:
      - 2
      - 0
    .max_flat_workgroup_size: 128
    .name:           _ZN2ck27kernel_gemm_xdl_cshuffle_v3INS_28GridwiseGemm_xdl_cshuffle_v3INS_13tensor_layout4gemm8RowMajorENS3_11ColumnMajorES4_DF16_NS_7pk_i4_tEfDF16_DF16_NS_16tensor_operation12element_wise11PassThroughES9_S9_LNS7_6device18GemmSpecializationE0ELi128ELi16ELi128ELi128ELi8ELi32ELi16ELi16ELi1ELi4ENS_8SequenceIJLi16ELi8ELi1EEEENSC_IJLi1ELi0ELi2EEEESE_Li2ELi8ELi8ELb0ELi0ENSC_IJLi4ELi32ELi1EEEESE_SE_Li2ELi32ELi32ELb0ELi0ELi1ELi1ENSC_IJLi1ELi16ELi1ELi8EEEELi4ELNS_26BlockGemmPipelineSchedulerE1ELNS_24BlockGemmPipelineVersionE1EDF16_DF16_Lb0ELb1ELb0ELi0ELb0EEELb1ELNS_25InMemoryDataOperationEnumE0ELi2ELNS_10TailNumberE10EEEvNT_8ArgumentE
    .private_segment_fixed_size: 0
    .sgpr_count:     36
    .sgpr_spill_count: 0
    .symbol:         _ZN2ck27kernel_gemm_xdl_cshuffle_v3INS_28GridwiseGemm_xdl_cshuffle_v3INS_13tensor_layout4gemm8RowMajorENS3_11ColumnMajorES4_DF16_NS_7pk_i4_tEfDF16_DF16_NS_16tensor_operation12element_wise11PassThroughES9_S9_LNS7_6device18GemmSpecializationE0ELi128ELi16ELi128ELi128ELi8ELi32ELi16ELi16ELi1ELi4ENS_8SequenceIJLi16ELi8ELi1EEEENSC_IJLi1ELi0ELi2EEEESE_Li2ELi8ELi8ELb0ELi0ENSC_IJLi4ELi32ELi1EEEESE_SE_Li2ELi32ELi32ELb0ELi0ELi1ELi1ENSC_IJLi1ELi16ELi1ELi8EEEELi4ELNS_26BlockGemmPipelineSchedulerE1ELNS_24BlockGemmPipelineVersionE1EDF16_DF16_Lb0ELb1ELb0ELi0ELb0EEELb1ELNS_25InMemoryDataOperationEnumE0ELi2ELNS_10TailNumberE10EEEvNT_8ArgumentE.kd
    .uniform_work_group_size: 1
    .uses_dynamic_stack: false
    .vgpr_count:     163
    .vgpr_spill_count: 0
    .wavefront_size: 64
  - .agpr_count:     0
    .args:
      - .offset:         0
        .size:           112
        .value_kind:     by_value
    .group_segment_fixed_size: 0
    .kernarg_segment_align: 8
    .kernarg_segment_size: 112
    .language:       OpenCL C
    .language_version:
      - 2
      - 0
    .max_flat_workgroup_size: 128
    .name:           _ZN2ck27kernel_gemm_xdl_cshuffle_v3INS_28GridwiseGemm_xdl_cshuffle_v3INS_13tensor_layout4gemm8RowMajorENS3_11ColumnMajorES4_DF16_NS_7pk_i4_tEfDF16_DF16_NS_16tensor_operation12element_wise11PassThroughES9_S9_LNS7_6device18GemmSpecializationE0ELi128ELi16ELi128ELi128ELi8ELi32ELi16ELi16ELi1ELi2ENS_8SequenceIJLi16ELi8ELi1EEEENSC_IJLi1ELi0ELi2EEEESE_Li2ELi8ELi8ELb0ELi0ENSC_IJLi4ELi32ELi1EEEESE_SE_Li2ELi32ELi32ELb0ELi0ELi1ELi1ENSC_IJLi1ELi16ELi1ELi8EEEELi4ELNS_26BlockGemmPipelineSchedulerE1ELNS_24BlockGemmPipelineVersionE1EDF16_DF16_Lb0ELb1ELb0ELi0ELb0EEELb1ELNS_25InMemoryDataOperationEnumE1ELi2ELNS_10TailNumberE2EEEvNT_8ArgumentE
    .private_segment_fixed_size: 0
    .sgpr_count:     6
    .sgpr_spill_count: 0
    .symbol:         _ZN2ck27kernel_gemm_xdl_cshuffle_v3INS_28GridwiseGemm_xdl_cshuffle_v3INS_13tensor_layout4gemm8RowMajorENS3_11ColumnMajorES4_DF16_NS_7pk_i4_tEfDF16_DF16_NS_16tensor_operation12element_wise11PassThroughES9_S9_LNS7_6device18GemmSpecializationE0ELi128ELi16ELi128ELi128ELi8ELi32ELi16ELi16ELi1ELi2ENS_8SequenceIJLi16ELi8ELi1EEEENSC_IJLi1ELi0ELi2EEEESE_Li2ELi8ELi8ELb0ELi0ENSC_IJLi4ELi32ELi1EEEESE_SE_Li2ELi32ELi32ELb0ELi0ELi1ELi1ENSC_IJLi1ELi16ELi1ELi8EEEELi4ELNS_26BlockGemmPipelineSchedulerE1ELNS_24BlockGemmPipelineVersionE1EDF16_DF16_Lb0ELb1ELb0ELi0ELb0EEELb1ELNS_25InMemoryDataOperationEnumE1ELi2ELNS_10TailNumberE2EEEvNT_8ArgumentE.kd
    .uniform_work_group_size: 1
    .uses_dynamic_stack: false
    .vgpr_count:     0
    .vgpr_spill_count: 0
    .wavefront_size: 64
  - .agpr_count:     0
    .args:
      - .offset:         0
        .size:           112
        .value_kind:     by_value
    .group_segment_fixed_size: 0
    .kernarg_segment_align: 8
    .kernarg_segment_size: 112
    .language:       OpenCL C
    .language_version:
      - 2
      - 0
    .max_flat_workgroup_size: 128
    .name:           _ZN2ck27kernel_gemm_xdl_cshuffle_v3INS_28GridwiseGemm_xdl_cshuffle_v3INS_13tensor_layout4gemm8RowMajorENS3_11ColumnMajorES4_DF16_NS_7pk_i4_tEfDF16_DF16_NS_16tensor_operation12element_wise11PassThroughES9_S9_LNS7_6device18GemmSpecializationE0ELi128ELi16ELi128ELi128ELi8ELi32ELi16ELi16ELi1ELi2ENS_8SequenceIJLi16ELi8ELi1EEEENSC_IJLi1ELi0ELi2EEEESE_Li2ELi8ELi8ELb0ELi0ENSC_IJLi4ELi32ELi1EEEESE_SE_Li2ELi32ELi32ELb0ELi0ELi1ELi1ENSC_IJLi1ELi16ELi1ELi8EEEELi4ELNS_26BlockGemmPipelineSchedulerE1ELNS_24BlockGemmPipelineVersionE1EDF16_DF16_Lb0ELb1ELb0ELi0ELb0EEELb1ELNS_25InMemoryDataOperationEnumE1ELi2ELNS_10TailNumberE10EEEvNT_8ArgumentE
    .private_segment_fixed_size: 0
    .sgpr_count:     6
    .sgpr_spill_count: 0
    .symbol:         _ZN2ck27kernel_gemm_xdl_cshuffle_v3INS_28GridwiseGemm_xdl_cshuffle_v3INS_13tensor_layout4gemm8RowMajorENS3_11ColumnMajorES4_DF16_NS_7pk_i4_tEfDF16_DF16_NS_16tensor_operation12element_wise11PassThroughES9_S9_LNS7_6device18GemmSpecializationE0ELi128ELi16ELi128ELi128ELi8ELi32ELi16ELi16ELi1ELi2ENS_8SequenceIJLi16ELi8ELi1EEEENSC_IJLi1ELi0ELi2EEEESE_Li2ELi8ELi8ELb0ELi0ENSC_IJLi4ELi32ELi1EEEESE_SE_Li2ELi32ELi32ELb0ELi0ELi1ELi1ENSC_IJLi1ELi16ELi1ELi8EEEELi4ELNS_26BlockGemmPipelineSchedulerE1ELNS_24BlockGemmPipelineVersionE1EDF16_DF16_Lb0ELb1ELb0ELi0ELb0EEELb1ELNS_25InMemoryDataOperationEnumE1ELi2ELNS_10TailNumberE10EEEvNT_8ArgumentE.kd
    .uniform_work_group_size: 1
    .uses_dynamic_stack: false
    .vgpr_count:     0
    .vgpr_spill_count: 0
    .wavefront_size: 64
  - .agpr_count:     0
    .args:
      - .offset:         0
        .size:           112
        .value_kind:     by_value
    .group_segment_fixed_size: 0
    .kernarg_segment_align: 8
    .kernarg_segment_size: 112
    .language:       OpenCL C
    .language_version:
      - 2
      - 0
    .max_flat_workgroup_size: 128
    .name:           _ZN2ck27kernel_gemm_xdl_cshuffle_v3INS_28GridwiseGemm_xdl_cshuffle_v3INS_13tensor_layout4gemm8RowMajorENS3_11ColumnMajorES4_DF16_NS_7pk_i4_tEfDF16_DF16_NS_16tensor_operation12element_wise11PassThroughES9_S9_LNS7_6device18GemmSpecializationE0ELi128ELi16ELi128ELi128ELi8ELi32ELi16ELi16ELi1ELi2ENS_8SequenceIJLi16ELi8ELi1EEEENSC_IJLi1ELi0ELi2EEEESE_Li2ELi8ELi8ELb0ELi0ENSC_IJLi4ELi32ELi1EEEESE_SE_Li2ELi32ELi32ELb0ELi0ELi1ELi1ENSC_IJLi1ELi16ELi1ELi8EEEELi4ELNS_26BlockGemmPipelineSchedulerE1ELNS_24BlockGemmPipelineVersionE1EDF16_DF16_Lb0ELb1ELb0ELi0ELb0EEELb1ELNS_25InMemoryDataOperationEnumE0ELi2ELNS_10TailNumberE2EEEvNT_8ArgumentE
    .private_segment_fixed_size: 0
    .sgpr_count:     6
    .sgpr_spill_count: 0
    .symbol:         _ZN2ck27kernel_gemm_xdl_cshuffle_v3INS_28GridwiseGemm_xdl_cshuffle_v3INS_13tensor_layout4gemm8RowMajorENS3_11ColumnMajorES4_DF16_NS_7pk_i4_tEfDF16_DF16_NS_16tensor_operation12element_wise11PassThroughES9_S9_LNS7_6device18GemmSpecializationE0ELi128ELi16ELi128ELi128ELi8ELi32ELi16ELi16ELi1ELi2ENS_8SequenceIJLi16ELi8ELi1EEEENSC_IJLi1ELi0ELi2EEEESE_Li2ELi8ELi8ELb0ELi0ENSC_IJLi4ELi32ELi1EEEESE_SE_Li2ELi32ELi32ELb0ELi0ELi1ELi1ENSC_IJLi1ELi16ELi1ELi8EEEELi4ELNS_26BlockGemmPipelineSchedulerE1ELNS_24BlockGemmPipelineVersionE1EDF16_DF16_Lb0ELb1ELb0ELi0ELb0EEELb1ELNS_25InMemoryDataOperationEnumE0ELi2ELNS_10TailNumberE2EEEvNT_8ArgumentE.kd
    .uniform_work_group_size: 1
    .uses_dynamic_stack: false
    .vgpr_count:     0
    .vgpr_spill_count: 0
    .wavefront_size: 64
  - .agpr_count:     0
    .args:
      - .offset:         0
        .size:           112
        .value_kind:     by_value
    .group_segment_fixed_size: 0
    .kernarg_segment_align: 8
    .kernarg_segment_size: 112
    .language:       OpenCL C
    .language_version:
      - 2
      - 0
    .max_flat_workgroup_size: 128
    .name:           _ZN2ck27kernel_gemm_xdl_cshuffle_v3INS_28GridwiseGemm_xdl_cshuffle_v3INS_13tensor_layout4gemm8RowMajorENS3_11ColumnMajorES4_DF16_NS_7pk_i4_tEfDF16_DF16_NS_16tensor_operation12element_wise11PassThroughES9_S9_LNS7_6device18GemmSpecializationE0ELi128ELi16ELi128ELi128ELi8ELi32ELi16ELi16ELi1ELi2ENS_8SequenceIJLi16ELi8ELi1EEEENSC_IJLi1ELi0ELi2EEEESE_Li2ELi8ELi8ELb0ELi0ENSC_IJLi4ELi32ELi1EEEESE_SE_Li2ELi32ELi32ELb0ELi0ELi1ELi1ENSC_IJLi1ELi16ELi1ELi8EEEELi4ELNS_26BlockGemmPipelineSchedulerE1ELNS_24BlockGemmPipelineVersionE1EDF16_DF16_Lb0ELb1ELb0ELi0ELb0EEELb1ELNS_25InMemoryDataOperationEnumE0ELi2ELNS_10TailNumberE10EEEvNT_8ArgumentE
    .private_segment_fixed_size: 0
    .sgpr_count:     6
    .sgpr_spill_count: 0
    .symbol:         _ZN2ck27kernel_gemm_xdl_cshuffle_v3INS_28GridwiseGemm_xdl_cshuffle_v3INS_13tensor_layout4gemm8RowMajorENS3_11ColumnMajorES4_DF16_NS_7pk_i4_tEfDF16_DF16_NS_16tensor_operation12element_wise11PassThroughES9_S9_LNS7_6device18GemmSpecializationE0ELi128ELi16ELi128ELi128ELi8ELi32ELi16ELi16ELi1ELi2ENS_8SequenceIJLi16ELi8ELi1EEEENSC_IJLi1ELi0ELi2EEEESE_Li2ELi8ELi8ELb0ELi0ENSC_IJLi4ELi32ELi1EEEESE_SE_Li2ELi32ELi32ELb0ELi0ELi1ELi1ENSC_IJLi1ELi16ELi1ELi8EEEELi4ELNS_26BlockGemmPipelineSchedulerE1ELNS_24BlockGemmPipelineVersionE1EDF16_DF16_Lb0ELb1ELb0ELi0ELb0EEELb1ELNS_25InMemoryDataOperationEnumE0ELi2ELNS_10TailNumberE10EEEvNT_8ArgumentE.kd
    .uniform_work_group_size: 1
    .uses_dynamic_stack: false
    .vgpr_count:     0
    .vgpr_spill_count: 0
    .wavefront_size: 64
amdhsa.target:   amdgcn-amd-amdhsa--gfx950
amdhsa.version:
  - 1
  - 2
...

	.end_amdgpu_metadata
